;; amdgpu-corpus repo=ROCm/rocFFT kind=compiled arch=gfx1030 opt=O3
	.text
	.amdgcn_target "amdgcn-amd-amdhsa--gfx1030"
	.amdhsa_code_object_version 6
	.protected	fft_rtc_fwd_len2000_factors_5_5_5_16_wgs_125_tpt_125_halfLds_sp_op_CI_CI_unitstride_sbrr_R2C_dirReg ; -- Begin function fft_rtc_fwd_len2000_factors_5_5_5_16_wgs_125_tpt_125_halfLds_sp_op_CI_CI_unitstride_sbrr_R2C_dirReg
	.globl	fft_rtc_fwd_len2000_factors_5_5_5_16_wgs_125_tpt_125_halfLds_sp_op_CI_CI_unitstride_sbrr_R2C_dirReg
	.p2align	8
	.type	fft_rtc_fwd_len2000_factors_5_5_5_16_wgs_125_tpt_125_halfLds_sp_op_CI_CI_unitstride_sbrr_R2C_dirReg,@function
fft_rtc_fwd_len2000_factors_5_5_5_16_wgs_125_tpt_125_halfLds_sp_op_CI_CI_unitstride_sbrr_R2C_dirReg: ; @fft_rtc_fwd_len2000_factors_5_5_5_16_wgs_125_tpt_125_halfLds_sp_op_CI_CI_unitstride_sbrr_R2C_dirReg
; %bb.0:
	s_clause 0x2
	s_load_dwordx4 s[12:15], s[4:5], 0x0
	s_load_dwordx4 s[8:11], s[4:5], 0x58
	;; [unrolled: 1-line block ×3, first 2 shown]
	v_mul_u32_u24_e32 v1, 0x20d, v0
	v_mov_b32_e32 v3, 0
	v_add_nc_u32_sdwa v5, s6, v1 dst_sel:DWORD dst_unused:UNUSED_PAD src0_sel:DWORD src1_sel:WORD_1
	v_mov_b32_e32 v1, 0
	v_mov_b32_e32 v6, v3
	v_mov_b32_e32 v2, 0
	s_waitcnt lgkmcnt(0)
	v_cmp_lt_u64_e64 s0, s[14:15], 2
	s_and_b32 vcc_lo, exec_lo, s0
	s_cbranch_vccnz .LBB0_8
; %bb.1:
	s_load_dwordx2 s[0:1], s[4:5], 0x10
	v_mov_b32_e32 v1, 0
	v_mov_b32_e32 v2, 0
	s_add_u32 s2, s18, 8
	s_addc_u32 s3, s19, 0
	s_add_u32 s6, s16, 8
	s_addc_u32 s7, s17, 0
	v_mov_b32_e32 v29, v2
	v_mov_b32_e32 v28, v1
	s_mov_b64 s[22:23], 1
	s_waitcnt lgkmcnt(0)
	s_add_u32 s20, s0, 8
	s_addc_u32 s21, s1, 0
.LBB0_2:                                ; =>This Inner Loop Header: Depth=1
	s_load_dwordx2 s[24:25], s[20:21], 0x0
                                        ; implicit-def: $vgpr32_vgpr33
	s_mov_b32 s0, exec_lo
	s_waitcnt lgkmcnt(0)
	v_or_b32_e32 v4, s25, v6
	v_cmpx_ne_u64_e32 0, v[3:4]
	s_xor_b32 s1, exec_lo, s0
	s_cbranch_execz .LBB0_4
; %bb.3:                                ;   in Loop: Header=BB0_2 Depth=1
	v_cvt_f32_u32_e32 v4, s24
	v_cvt_f32_u32_e32 v7, s25
	s_sub_u32 s0, 0, s24
	s_subb_u32 s26, 0, s25
	v_fmac_f32_e32 v4, 0x4f800000, v7
	v_rcp_f32_e32 v4, v4
	v_mul_f32_e32 v4, 0x5f7ffffc, v4
	v_mul_f32_e32 v7, 0x2f800000, v4
	v_trunc_f32_e32 v7, v7
	v_fmac_f32_e32 v4, 0xcf800000, v7
	v_cvt_u32_f32_e32 v7, v7
	v_cvt_u32_f32_e32 v4, v4
	v_mul_lo_u32 v8, s0, v7
	v_mul_hi_u32 v9, s0, v4
	v_mul_lo_u32 v10, s26, v4
	v_add_nc_u32_e32 v8, v9, v8
	v_mul_lo_u32 v9, s0, v4
	v_add_nc_u32_e32 v8, v8, v10
	v_mul_hi_u32 v10, v4, v9
	v_mul_lo_u32 v11, v4, v8
	v_mul_hi_u32 v12, v4, v8
	v_mul_hi_u32 v13, v7, v9
	v_mul_lo_u32 v9, v7, v9
	v_mul_hi_u32 v14, v7, v8
	v_mul_lo_u32 v8, v7, v8
	v_add_co_u32 v10, vcc_lo, v10, v11
	v_add_co_ci_u32_e32 v11, vcc_lo, 0, v12, vcc_lo
	v_add_co_u32 v9, vcc_lo, v10, v9
	v_add_co_ci_u32_e32 v9, vcc_lo, v11, v13, vcc_lo
	v_add_co_ci_u32_e32 v10, vcc_lo, 0, v14, vcc_lo
	v_add_co_u32 v8, vcc_lo, v9, v8
	v_add_co_ci_u32_e32 v9, vcc_lo, 0, v10, vcc_lo
	v_add_co_u32 v4, vcc_lo, v4, v8
	v_add_co_ci_u32_e32 v7, vcc_lo, v7, v9, vcc_lo
	v_mul_hi_u32 v8, s0, v4
	v_mul_lo_u32 v10, s26, v4
	v_mul_lo_u32 v9, s0, v7
	v_add_nc_u32_e32 v8, v8, v9
	v_mul_lo_u32 v9, s0, v4
	v_add_nc_u32_e32 v8, v8, v10
	v_mul_hi_u32 v10, v4, v9
	v_mul_lo_u32 v11, v4, v8
	v_mul_hi_u32 v12, v4, v8
	v_mul_hi_u32 v13, v7, v9
	v_mul_lo_u32 v9, v7, v9
	v_mul_hi_u32 v14, v7, v8
	v_mul_lo_u32 v8, v7, v8
	v_add_co_u32 v10, vcc_lo, v10, v11
	v_add_co_ci_u32_e32 v11, vcc_lo, 0, v12, vcc_lo
	v_add_co_u32 v9, vcc_lo, v10, v9
	v_add_co_ci_u32_e32 v9, vcc_lo, v11, v13, vcc_lo
	v_add_co_ci_u32_e32 v10, vcc_lo, 0, v14, vcc_lo
	v_add_co_u32 v8, vcc_lo, v9, v8
	v_add_co_ci_u32_e32 v9, vcc_lo, 0, v10, vcc_lo
	v_add_co_u32 v4, vcc_lo, v4, v8
	v_add_co_ci_u32_e32 v11, vcc_lo, v7, v9, vcc_lo
	v_mul_hi_u32 v13, v5, v4
	v_mad_u64_u32 v[9:10], null, v6, v4, 0
	v_mad_u64_u32 v[7:8], null, v5, v11, 0
	;; [unrolled: 1-line block ×3, first 2 shown]
	v_add_co_u32 v4, vcc_lo, v13, v7
	v_add_co_ci_u32_e32 v7, vcc_lo, 0, v8, vcc_lo
	v_add_co_u32 v4, vcc_lo, v4, v9
	v_add_co_ci_u32_e32 v4, vcc_lo, v7, v10, vcc_lo
	v_add_co_ci_u32_e32 v7, vcc_lo, 0, v12, vcc_lo
	v_add_co_u32 v4, vcc_lo, v4, v11
	v_add_co_ci_u32_e32 v9, vcc_lo, 0, v7, vcc_lo
	v_mul_lo_u32 v10, s25, v4
	v_mad_u64_u32 v[7:8], null, s24, v4, 0
	v_mul_lo_u32 v11, s24, v9
	v_sub_co_u32 v7, vcc_lo, v5, v7
	v_add3_u32 v8, v8, v11, v10
	v_sub_nc_u32_e32 v10, v6, v8
	v_subrev_co_ci_u32_e64 v10, s0, s25, v10, vcc_lo
	v_add_co_u32 v11, s0, v4, 2
	v_add_co_ci_u32_e64 v12, s0, 0, v9, s0
	v_sub_co_u32 v13, s0, v7, s24
	v_sub_co_ci_u32_e32 v8, vcc_lo, v6, v8, vcc_lo
	v_subrev_co_ci_u32_e64 v10, s0, 0, v10, s0
	v_cmp_le_u32_e32 vcc_lo, s24, v13
	v_cmp_eq_u32_e64 s0, s25, v8
	v_cndmask_b32_e64 v13, 0, -1, vcc_lo
	v_cmp_le_u32_e32 vcc_lo, s25, v10
	v_cndmask_b32_e64 v14, 0, -1, vcc_lo
	v_cmp_le_u32_e32 vcc_lo, s24, v7
	;; [unrolled: 2-line block ×3, first 2 shown]
	v_cndmask_b32_e64 v15, 0, -1, vcc_lo
	v_cmp_eq_u32_e32 vcc_lo, s25, v10
	v_cndmask_b32_e64 v7, v15, v7, s0
	v_cndmask_b32_e32 v10, v14, v13, vcc_lo
	v_add_co_u32 v13, vcc_lo, v4, 1
	v_add_co_ci_u32_e32 v14, vcc_lo, 0, v9, vcc_lo
	v_cmp_ne_u32_e32 vcc_lo, 0, v10
	v_cndmask_b32_e32 v8, v14, v12, vcc_lo
	v_cndmask_b32_e32 v10, v13, v11, vcc_lo
	v_cmp_ne_u32_e32 vcc_lo, 0, v7
	v_cndmask_b32_e32 v33, v9, v8, vcc_lo
	v_cndmask_b32_e32 v32, v4, v10, vcc_lo
.LBB0_4:                                ;   in Loop: Header=BB0_2 Depth=1
	s_andn2_saveexec_b32 s0, s1
	s_cbranch_execz .LBB0_6
; %bb.5:                                ;   in Loop: Header=BB0_2 Depth=1
	v_cvt_f32_u32_e32 v4, s24
	s_sub_i32 s1, 0, s24
	v_mov_b32_e32 v33, v3
	v_rcp_iflag_f32_e32 v4, v4
	v_mul_f32_e32 v4, 0x4f7ffffe, v4
	v_cvt_u32_f32_e32 v4, v4
	v_mul_lo_u32 v7, s1, v4
	v_mul_hi_u32 v7, v4, v7
	v_add_nc_u32_e32 v4, v4, v7
	v_mul_hi_u32 v4, v5, v4
	v_mul_lo_u32 v7, v4, s24
	v_add_nc_u32_e32 v8, 1, v4
	v_sub_nc_u32_e32 v7, v5, v7
	v_subrev_nc_u32_e32 v9, s24, v7
	v_cmp_le_u32_e32 vcc_lo, s24, v7
	v_cndmask_b32_e32 v7, v7, v9, vcc_lo
	v_cndmask_b32_e32 v4, v4, v8, vcc_lo
	v_cmp_le_u32_e32 vcc_lo, s24, v7
	v_add_nc_u32_e32 v8, 1, v4
	v_cndmask_b32_e32 v32, v4, v8, vcc_lo
.LBB0_6:                                ;   in Loop: Header=BB0_2 Depth=1
	s_or_b32 exec_lo, exec_lo, s0
	v_mul_lo_u32 v4, v33, s24
	v_mul_lo_u32 v9, v32, s25
	s_load_dwordx2 s[0:1], s[6:7], 0x0
	v_mad_u64_u32 v[7:8], null, v32, s24, 0
	s_load_dwordx2 s[24:25], s[2:3], 0x0
	s_add_u32 s22, s22, 1
	s_addc_u32 s23, s23, 0
	s_add_u32 s2, s2, 8
	s_addc_u32 s3, s3, 0
	s_add_u32 s6, s6, 8
	v_add3_u32 v4, v8, v9, v4
	v_sub_co_u32 v5, vcc_lo, v5, v7
	s_addc_u32 s7, s7, 0
	s_add_u32 s20, s20, 8
	v_sub_co_ci_u32_e32 v4, vcc_lo, v6, v4, vcc_lo
	s_addc_u32 s21, s21, 0
	s_waitcnt lgkmcnt(0)
	v_mul_lo_u32 v6, s0, v4
	v_mul_lo_u32 v7, s1, v5
	v_mad_u64_u32 v[1:2], null, s0, v5, v[1:2]
	v_mul_lo_u32 v4, s24, v4
	v_mul_lo_u32 v8, s25, v5
	v_mad_u64_u32 v[28:29], null, s24, v5, v[28:29]
	v_cmp_ge_u64_e64 s0, s[22:23], s[14:15]
	v_add3_u32 v2, v7, v2, v6
	v_add3_u32 v29, v8, v29, v4
	s_and_b32 vcc_lo, exec_lo, s0
	s_cbranch_vccnz .LBB0_9
; %bb.7:                                ;   in Loop: Header=BB0_2 Depth=1
	v_mov_b32_e32 v5, v32
	v_mov_b32_e32 v6, v33
	s_branch .LBB0_2
.LBB0_8:
	v_mov_b32_e32 v29, v2
	v_mov_b32_e32 v33, v6
	;; [unrolled: 1-line block ×4, first 2 shown]
.LBB0_9:
	s_load_dwordx2 s[0:1], s[4:5], 0x28
	v_mul_hi_u32 v3, 0x20c49bb, v0
	s_lshl_b64 s[4:5], s[14:15], 3
                                        ; implicit-def: $vgpr30
                                        ; implicit-def: $vgpr34
                                        ; implicit-def: $vgpr37
                                        ; implicit-def: $vgpr36
	s_add_u32 s2, s18, s4
	s_addc_u32 s3, s19, s5
	s_waitcnt lgkmcnt(0)
	v_cmp_gt_u64_e32 vcc_lo, s[0:1], v[32:33]
	v_cmp_le_u64_e64 s0, s[0:1], v[32:33]
	s_and_saveexec_b32 s1, s0
	s_xor_b32 s0, exec_lo, s1
; %bb.10:
	v_mul_u32_u24_e32 v1, 0x7d, v3
                                        ; implicit-def: $vgpr3
	v_sub_nc_u32_e32 v30, v0, v1
                                        ; implicit-def: $vgpr0
                                        ; implicit-def: $vgpr1_vgpr2
	v_add_nc_u32_e32 v34, 0x7d, v30
	v_add_nc_u32_e32 v37, 0xfa, v30
	;; [unrolled: 1-line block ×3, first 2 shown]
; %bb.11:
	s_andn2_saveexec_b32 s1, s0
	s_cbranch_execz .LBB0_13
; %bb.12:
	s_add_u32 s4, s16, s4
	s_addc_u32 s5, s17, s5
	v_lshlrev_b64 v[1:2], 3, v[1:2]
	s_load_dwordx2 s[4:5], s[4:5], 0x0
	s_waitcnt lgkmcnt(0)
	v_mul_lo_u32 v6, s5, v32
	v_mul_lo_u32 v7, s4, v33
	v_mad_u64_u32 v[4:5], null, s4, v32, 0
	v_add3_u32 v5, v5, v7, v6
	v_mul_u32_u24_e32 v6, 0x7d, v3
	v_lshlrev_b64 v[3:4], 3, v[4:5]
	v_sub_nc_u32_e32 v30, v0, v6
	v_lshlrev_b32_e32 v31, 3, v30
	v_add_co_u32 v0, s0, s8, v3
	v_add_co_ci_u32_e64 v3, s0, s9, v4, s0
	v_add_nc_u32_e32 v34, 0x7d, v30
	v_add_co_u32 v0, s0, v0, v1
	v_add_co_ci_u32_e64 v1, s0, v3, v2, s0
	v_add_nc_u32_e32 v37, 0xfa, v30
	;; [unrolled: 3-line block ×3, first 2 shown]
	v_add_co_u32 v2, s0, 0x800, v0
	v_add_co_ci_u32_e64 v3, s0, 0, v1, s0
	v_add_co_u32 v4, s0, 0x1000, v0
	v_add_co_ci_u32_e64 v5, s0, 0, v1, s0
	;; [unrolled: 2-line block ×7, first 2 shown]
	s_clause 0xf
	global_load_dwordx2 v[16:17], v[0:1], off
	global_load_dwordx2 v[18:19], v[0:1], off offset:1000
	global_load_dwordx2 v[0:1], v[0:1], off offset:2000
	;; [unrolled: 1-line block ×15, first 2 shown]
	v_add_nc_u32_e32 v36, 0x177, v30
	v_add_nc_u32_e32 v35, 0x400, v31
	;; [unrolled: 1-line block ×8, first 2 shown]
	s_waitcnt vmcnt(14)
	ds_write2_b64 v31, v[16:17], v[18:19] offset1:125
	s_waitcnt vmcnt(12)
	ds_write2_b64 v35, v[0:1], v[20:21] offset0:122 offset1:247
	s_waitcnt vmcnt(10)
	ds_write2_b64 v42, v[2:3], v[22:23] offset0:116 offset1:241
	;; [unrolled: 2-line block ×7, first 2 shown]
.LBB0_13:
	s_or_b32 exec_lo, exec_lo, s1
	v_lshl_add_u32 v50, v30, 3, 0
	s_load_dwordx2 s[2:3], s[2:3], 0x0
	s_waitcnt lgkmcnt(0)
	s_barrier
	buffer_gl0_inv
	v_add_nc_u32_e32 v8, 0xc00, v50
	v_add_nc_u32_e32 v0, 0x1800, v50
	;; [unrolled: 1-line block ×4, first 2 shown]
	ds_read2_b64 v[4:7], v50 offset1:125
	ds_read2_b64 v[11:14], v8 offset0:16 offset1:141
	ds_read2_b64 v[15:18], v0 offset0:32 offset1:157
	ds_read2_b64 v[19:22], v9 offset0:48 offset1:173
	ds_read2_b64 v[23:26], v1 offset0:64 offset1:189
	v_add_nc_u32_e32 v0, 0x400, v50
	v_cmp_gt_u32_e64 s0, 25, v30
	ds_read2_b64 v[0:3], v0 offset0:122 offset1:247
	s_waitcnt lgkmcnt(4)
	v_add_f32_e32 v10, v4, v11
	v_add_f32_e32 v38, v5, v12
	;; [unrolled: 1-line block ×3, first 2 shown]
	s_waitcnt lgkmcnt(2)
	v_add_f32_e32 v27, v15, v19
	s_waitcnt lgkmcnt(1)
	v_sub_f32_e32 v31, v12, v24
	v_add_f32_e32 v10, v10, v15
	v_sub_f32_e32 v46, v11, v15
	v_sub_f32_e32 v47, v23, v19
	;; [unrolled: 1-line block ×6, first 2 shown]
	v_add_f32_e32 v56, v12, v24
	v_add_f32_e32 v15, v38, v16
	;; [unrolled: 1-line block ×3, first 2 shown]
	v_sub_f32_e32 v57, v16, v12
	v_add_f32_e32 v19, v10, v19
	v_add_f32_e32 v12, v7, v14
	v_add_nc_u32_e32 v10, 0x1400, v50
	v_add_f32_e32 v59, v38, v21
	v_sub_f32_e32 v35, v16, v20
	v_add_f32_e32 v52, v16, v20
	v_add_f32_e32 v64, v12, v18
	v_add_nc_u32_e32 v12, 0x2000, v50
	ds_read2_b64 v[38:41], v10 offset0:10 offset1:135
	v_sub_f32_e32 v55, v24, v20
	v_sub_f32_e32 v58, v20, v24
	v_add_f32_e32 v20, v15, v20
	v_add_f32_e32 v60, v17, v21
	v_sub_f32_e32 v61, v18, v22
	v_sub_f32_e32 v62, v13, v17
	;; [unrolled: 1-line block ×3, first 2 shown]
	v_add_f32_e32 v65, v18, v22
	v_sub_f32_e32 v66, v17, v21
	v_sub_f32_e32 v67, v14, v18
	;; [unrolled: 1-line block ×3, first 2 shown]
	ds_read2_b64 v[15:18], v12 offset0:26 offset1:151
	v_add_nc_u32_e32 v12, 0x2c00, v50
	v_sub_f32_e32 v69, v14, v26
	v_add_f32_e32 v70, v13, v25
	v_sub_f32_e32 v71, v13, v25
	v_add_f32_e32 v72, v14, v26
	ds_read2_b64 v[42:45], v12 offset0:42 offset1:167
	v_sub_f32_e32 v73, v25, v21
	v_sub_f32_e32 v74, v21, v25
	v_add_f32_e32 v21, v64, v22
	v_add_f32_e32 v13, v19, v23
	;; [unrolled: 1-line block ×3, first 2 shown]
	s_waitcnt lgkmcnt(2)
	v_add_f32_e32 v19, v0, v38
	v_add_nc_u32_e32 v20, 0x3800, v50
	v_sub_f32_e32 v64, v26, v22
	v_sub_f32_e32 v75, v22, v26
	v_add_f32_e32 v24, v21, v26
	v_add_f32_e32 v48, v11, v23
	v_sub_f32_e32 v11, v11, v23
	v_add_f32_e32 v23, v59, v25
	s_waitcnt lgkmcnt(1)
	v_add_f32_e32 v76, v19, v15
	ds_read2_b64 v[19:22], v20 offset0:58 offset1:183
	v_add_f32_e32 v25, v1, v39
	v_add_f32_e32 v26, v2, v40
	v_sub_f32_e32 v79, v38, v15
	v_sub_f32_e32 v80, v15, v38
	s_waitcnt lgkmcnt(1)
	v_add_f32_e32 v77, v15, v42
	v_add_f32_e32 v25, v25, v16
	v_sub_f32_e32 v78, v16, v43
	v_add_f32_e32 v81, v16, v43
	v_sub_f32_e32 v82, v15, v42
	v_sub_f32_e32 v83, v39, v16
	;; [unrolled: 1-line block ×3, first 2 shown]
	v_add_f32_e32 v16, v76, v42
	v_fma_f32 v15, -0.5, v27, v4
	v_add_f32_e32 v59, v3, v41
	v_add_f32_e32 v26, v26, v17
	;; [unrolled: 1-line block ×3, first 2 shown]
	v_sub_f32_e32 v87, v40, v17
	v_sub_f32_e32 v88, v17, v40
	;; [unrolled: 1-line block ×5, first 2 shown]
	s_waitcnt lgkmcnt(0)
	v_add_f32_e32 v94, v38, v19
	v_sub_f32_e32 v95, v38, v19
	v_sub_f32_e32 v97, v41, v22
	v_add_f32_e32 v98, v40, v21
	v_sub_f32_e32 v99, v40, v21
	v_add_f32_e32 v100, v41, v22
	v_sub_f32_e32 v40, v19, v42
	v_sub_f32_e32 v41, v42, v19
	v_add_f32_e32 v17, v16, v19
	v_fmamk_f32 v19, v31, 0x3f737871, v15
	v_fmac_f32_e32 v15, 0xbf737871, v31
	v_add_f32_e32 v59, v59, v18
	v_sub_f32_e32 v86, v18, v45
	v_add_f32_e32 v89, v18, v45
	v_add_f32_e32 v18, v25, v43
	;; [unrolled: 1-line block ×3, first 2 shown]
	v_fma_f32 v4, -0.5, v48, v4
	v_add_f32_e32 v16, v46, v47
	v_fmac_f32_e32 v19, 0x3f167918, v35
	v_fmac_f32_e32 v15, 0xbf167918, v35
	v_add_f32_e32 v26, v59, v45
	v_sub_f32_e32 v59, v21, v44
	v_sub_f32_e32 v76, v44, v21
	v_add_f32_e32 v38, v25, v21
	v_fmamk_f32 v21, v35, 0xbf737871, v4
	v_fmac_f32_e32 v4, 0x3f737871, v35
	v_fmac_f32_e32 v19, 0x3e9e377a, v16
	;; [unrolled: 1-line block ×3, first 2 shown]
	v_fma_f32 v16, -0.5, v52, v5
	v_fma_f32 v5, -0.5, v56, v5
	;; [unrolled: 1-line block ×3, first 2 shown]
	v_sub_f32_e32 v93, v39, v20
	v_add_f32_e32 v96, v39, v20
	v_sub_f32_e32 v27, v22, v45
	v_sub_f32_e32 v101, v45, v22
	v_add_f32_e32 v39, v26, v22
	v_add_f32_e32 v26, v49, v51
	v_fmac_f32_e32 v21, 0x3f167918, v31
	v_fmac_f32_e32 v4, 0xbf167918, v31
	v_fmamk_f32 v22, v53, 0x3f737871, v5
	v_fmac_f32_e32 v5, 0xbf737871, v53
	v_fmamk_f32 v44, v69, 0x3f737871, v25
	v_fmac_f32_e32 v25, 0xbf737871, v69
	v_fma_f32 v6, -0.5, v70, v6
	v_sub_f32_e32 v42, v20, v43
	v_sub_f32_e32 v43, v43, v20
	v_add_f32_e32 v18, v18, v20
	v_fmamk_f32 v20, v11, 0xbf737871, v16
	v_fmac_f32_e32 v16, 0x3f737871, v11
	v_fmac_f32_e32 v22, 0xbf167918, v11
	;; [unrolled: 1-line block ×5, first 2 shown]
	v_add_f32_e32 v11, v62, v73
	v_fmac_f32_e32 v44, 0x3f167918, v61
	v_fmac_f32_e32 v25, 0xbf167918, v61
	v_fmamk_f32 v46, v61, 0xbf737871, v6
	v_fmac_f32_e32 v6, 0x3f737871, v61
	v_fma_f32 v26, -0.5, v65, v7
	v_fma_f32 v51, -0.5, v77, v0
	v_add_f32_e32 v31, v54, v55
	v_fmac_f32_e32 v20, 0xbf167918, v53
	v_fmac_f32_e32 v16, 0x3f167918, v53
	;; [unrolled: 1-line block ×4, first 2 shown]
	v_add_f32_e32 v11, v63, v74
	v_fmac_f32_e32 v46, 0x3f167918, v69
	v_fmac_f32_e32 v7, -0.5, v72
	v_fmac_f32_e32 v6, 0xbf167918, v69
	v_fmamk_f32 v45, v71, 0xbf737871, v26
	v_fmac_f32_e32 v26, 0x3f737871, v71
	v_fmamk_f32 v53, v93, 0x3f737871, v51
	v_fmac_f32_e32 v51, 0xbf737871, v93
	v_fma_f32 v0, -0.5, v94, v0
	v_add_f32_e32 v35, v57, v58
	v_fmac_f32_e32 v20, 0x3e9e377a, v31
	v_fmac_f32_e32 v16, 0x3e9e377a, v31
	v_add_f32_e32 v31, v67, v64
	v_fmamk_f32 v47, v66, 0x3f737871, v7
	v_fmac_f32_e32 v7, 0xbf737871, v66
	v_fmac_f32_e32 v45, 0xbf167918, v66
	;; [unrolled: 1-line block ×5, first 2 shown]
	v_add_f32_e32 v11, v79, v40
	v_fmac_f32_e32 v53, 0x3f167918, v78
	v_fmac_f32_e32 v51, 0xbf167918, v78
	v_fmamk_f32 v55, v78, 0xbf737871, v0
	v_fmac_f32_e32 v0, 0x3f737871, v78
	v_fma_f32 v52, -0.5, v81, v1
	v_fma_f32 v40, -0.5, v85, v2
	v_fmac_f32_e32 v22, 0x3e9e377a, v35
	v_fmac_f32_e32 v5, 0x3e9e377a, v35
	v_add_f32_e32 v35, v68, v75
	v_fmac_f32_e32 v47, 0xbf167918, v71
	v_fmac_f32_e32 v7, 0x3f167918, v71
	;; [unrolled: 1-line block ×6, first 2 shown]
	v_add_f32_e32 v11, v80, v41
	v_fmac_f32_e32 v55, 0x3f167918, v93
	v_fma_f32 v1, -0.5, v96, v1
	v_fmac_f32_e32 v0, 0xbf167918, v93
	v_fmamk_f32 v54, v95, 0xbf737871, v52
	v_fmac_f32_e32 v52, 0x3f737871, v95
	v_add_f32_e32 v31, v83, v42
	v_fmamk_f32 v42, v97, 0x3f737871, v40
	v_fmac_f32_e32 v40, 0xbf737871, v97
	v_fma_f32 v2, -0.5, v98, v2
	v_fma_f32 v41, -0.5, v89, v3
	v_fmac_f32_e32 v3, -0.5, v100
	v_fmac_f32_e32 v47, 0x3e9e377a, v35
	v_fmac_f32_e32 v7, 0x3e9e377a, v35
	v_fmamk_f32 v56, v82, 0x3f737871, v1
	v_fmac_f32_e32 v1, 0xbf737871, v82
	v_fmac_f32_e32 v54, 0xbf167918, v82
	;; [unrolled: 1-line block ×3, first 2 shown]
	v_add_f32_e32 v35, v84, v43
	v_fmac_f32_e32 v55, 0x3e9e377a, v11
	v_fmac_f32_e32 v0, 0x3e9e377a, v11
	v_add_f32_e32 v11, v87, v59
	v_fmac_f32_e32 v42, 0x3f167918, v86
	v_fmac_f32_e32 v40, 0xbf167918, v86
	v_fmamk_f32 v48, v86, 0xbf737871, v2
	v_fmac_f32_e32 v2, 0x3f737871, v86
	v_fmamk_f32 v43, v99, 0xbf737871, v41
	;; [unrolled: 2-line block ×3, first 2 shown]
	v_fmac_f32_e32 v3, 0xbf737871, v90
	v_fmac_f32_e32 v56, 0xbf167918, v95
	;; [unrolled: 1-line block ×7, first 2 shown]
	v_add_f32_e32 v11, v88, v76
	v_fmac_f32_e32 v48, 0x3f167918, v97
	v_fmac_f32_e32 v2, 0xbf167918, v97
	v_add_f32_e32 v27, v91, v27
	v_fmac_f32_e32 v43, 0xbf167918, v90
	v_fmac_f32_e32 v41, 0x3f167918, v90
	;; [unrolled: 1-line block ×3, first 2 shown]
	v_add_f32_e32 v31, v92, v101
	v_fmac_f32_e32 v3, 0x3f167918, v99
	v_fmac_f32_e32 v56, 0x3e9e377a, v35
	;; [unrolled: 1-line block ×9, first 2 shown]
	v_lshl_add_u32 v11, v30, 5, v50
	v_mad_i32_i24 v31, v34, 40, 0
	v_mad_i32_i24 v35, v37, 40, 0
	s_barrier
	buffer_gl0_inv
	ds_write2_b64 v11, v[13:14], v[19:20] offset1:1
	ds_write2_b64 v11, v[21:22], v[4:5] offset0:2 offset1:3
	ds_write_b64 v11, v[15:16] offset:32
	ds_write2_b64 v31, v[23:24], v[44:45] offset1:1
	ds_write2_b64 v31, v[46:47], v[6:7] offset0:2 offset1:3
	ds_write_b64 v31, v[25:26] offset:32
	;; [unrolled: 3-line block ×3, first 2 shown]
	s_and_saveexec_b32 s1, s0
	s_cbranch_execz .LBB0_15
; %bb.14:
	v_mad_i32_i24 v0, v36, 40, 0
	ds_write2_b64 v0, v[38:39], v[42:43] offset1:1
	ds_write2_b64 v0, v[48:49], v[2:3] offset0:2 offset1:3
	ds_write_b64 v0, v[40:41] offset:32
.LBB0_15:
	s_or_b32 exec_lo, exec_lo, s1
	v_lshlrev_b32_e32 v56, 5, v34
	v_lshlrev_b32_e32 v57, 5, v37
	v_add_nc_u32_e32 v0, 0x1c00, v50
	v_add_nc_u32_e32 v1, 0x3400, v50
	s_waitcnt lgkmcnt(0)
	v_sub_nc_u32_e32 v44, v31, v56
	v_sub_nc_u32_e32 v51, v35, v57
	s_barrier
	buffer_gl0_inv
	ds_read2_b64 v[16:19], v8 offset0:16 offset1:141
	ds_read2_b64 v[4:7], v10 offset0:10 offset1:160
	;; [unrolled: 1-line block ×6, first 2 shown]
	ds_read_b64 v[46:47], v50
	ds_read_b64 v[44:45], v44
	;; [unrolled: 1-line block ×3, first 2 shown]
	v_lshl_add_u32 v51, v36, 3, 0
	s_and_saveexec_b32 s1, s0
	s_cbranch_execz .LBB0_17
; %bb.16:
	ds_read_b64 v[38:39], v51
	ds_read_b64 v[42:43], v50 offset:6200
	ds_read_b64 v[48:49], v50 offset:9400
	;; [unrolled: 1-line block ×4, first 2 shown]
.LBB0_17:
	s_or_b32 exec_lo, exec_lo, s1
	v_and_b32_e32 v54, 0xff, v30
	v_and_b32_e32 v55, 0xff, v34
	v_mov_b32_e32 v58, 5
	v_mov_b32_e32 v98, 0xc8
	v_mul_lo_u16 v52, 0xcd, v54
	v_lshrrev_b16 v92, 10, v52
	v_mul_lo_u16 v52, 0xcd, v55
	v_mul_lo_u16 v53, v92, 5
	v_lshrrev_b16 v93, 10, v52
	v_mov_b32_e32 v52, 0xcccd
	v_sub_nc_u16 v94, v30, v53
	v_mul_lo_u16 v53, v93, 5
	v_mul_u32_u24_sdwa v59, v37, v52 dst_sel:DWORD dst_unused:UNUSED_PAD src0_sel:WORD_0 src1_sel:DWORD
	v_mul_u32_u24_sdwa v52, v36, v52 dst_sel:DWORD dst_unused:UNUSED_PAD src0_sel:WORD_0 src1_sel:DWORD
	v_lshlrev_b32_sdwa v64, v58, v94 dst_sel:DWORD dst_unused:UNUSED_PAD src0_sel:DWORD src1_sel:BYTE_0
	v_sub_nc_u16 v95, v34, v53
	v_lshrrev_b32_e32 v96, 18, v59
	v_lshrrev_b32_e32 v52, 18, v52
	global_load_dwordx4 v[60:63], v64, s[12:13]
	v_lshlrev_b32_sdwa v53, v58, v95 dst_sel:DWORD dst_unused:UNUSED_PAD src0_sel:DWORD src1_sel:BYTE_0
	v_mul_lo_u16 v59, v96, 5
	s_clause 0x2
	global_load_dwordx4 v[64:67], v64, s[12:13] offset:16
	global_load_dwordx4 v[68:71], v53, s[12:13]
	global_load_dwordx4 v[72:75], v53, s[12:13] offset:16
	v_mul_lo_u16 v53, v52, 5
	v_sub_nc_u16 v97, v37, v59
	v_sub_nc_u16 v53, v36, v53
	v_lshlrev_b32_sdwa v59, v58, v97 dst_sel:DWORD dst_unused:UNUSED_PAD src0_sel:DWORD src1_sel:WORD_0
	v_lshlrev_b32_sdwa v58, v58, v53 dst_sel:DWORD dst_unused:UNUSED_PAD src0_sel:DWORD src1_sel:WORD_0
	s_clause 0x3
	global_load_dwordx4 v[76:79], v59, s[12:13]
	global_load_dwordx4 v[80:83], v59, s[12:13] offset:16
	global_load_dwordx4 v[84:87], v58, s[12:13]
	global_load_dwordx4 v[88:91], v58, s[12:13] offset:16
	v_mov_b32_e32 v59, 3
	v_sub_nc_u32_e32 v58, 0, v56
	v_sub_nc_u32_e32 v56, 0, v57
	v_mul_u32_u24_sdwa v57, v92, v98 dst_sel:DWORD dst_unused:UNUSED_PAD src0_sel:WORD_0 src1_sel:DWORD
	v_mul_u32_u24_sdwa v92, v93, v98 dst_sel:DWORD dst_unused:UNUSED_PAD src0_sel:WORD_0 src1_sel:DWORD
	v_mul_u32_u24_e32 v93, 0xc8, v96
	v_lshlrev_b32_sdwa v94, v59, v94 dst_sel:DWORD dst_unused:UNUSED_PAD src0_sel:DWORD src1_sel:BYTE_0
	v_lshlrev_b32_sdwa v95, v59, v95 dst_sel:DWORD dst_unused:UNUSED_PAD src0_sel:DWORD src1_sel:BYTE_0
	v_lshlrev_b32_sdwa v96, v59, v97 dst_sel:DWORD dst_unused:UNUSED_PAD src0_sel:DWORD src1_sel:WORD_0
	s_waitcnt vmcnt(0) lgkmcnt(0)
	s_barrier
	v_add3_u32 v57, 0, v57, v94
	v_add3_u32 v92, 0, v92, v95
	;; [unrolled: 1-line block ×3, first 2 shown]
	buffer_gl0_inv
	v_mul_f32_e32 v94, v61, v17
	v_mul_f32_e32 v61, v61, v16
	;; [unrolled: 1-line block ×16, first 2 shown]
	v_fma_f32 v16, v60, v16, -v94
	v_fmac_f32_e32 v61, v60, v17
	v_fma_f32 v6, v62, v6, -v95
	v_fmac_f32_e32 v63, v62, v7
	v_mul_f32_e32 v7, v5, v77
	v_mul_f32_e32 v17, v4, v77
	;; [unrolled: 1-line block ×4, first 2 shown]
	v_fma_f32 v8, v64, v8, -v96
	v_fmac_f32_e32 v65, v64, v9
	v_fma_f32 v64, v66, v14, -v97
	v_fmac_f32_e32 v67, v66, v15
	v_mul_f32_e32 v9, v13, v81
	v_mul_f32_e32 v66, v12, v81
	v_mul_f32_e32 v14, v23, v83
	v_mul_f32_e32 v77, v22, v83
	v_fma_f32 v15, v68, v18, -v98
	v_fmac_f32_e32 v69, v68, v19
	v_mul_f32_e32 v18, v43, v85
	v_mul_f32_e32 v19, v42, v85
	v_mul_f32_e32 v68, v49, v87
	v_mul_f32_e32 v79, v48, v87
	;; [unrolled: 6-line block ×3, first 2 shown]
	v_fma_f32 v85, v72, v10, -v100
	v_fmac_f32_e32 v73, v72, v11
	v_fma_f32 v72, v20, v74, -v101
	v_fmac_f32_e32 v75, v21, v74
	;; [unrolled: 2-line block ×3, first 2 shown]
	v_fma_f32 v7, v26, v78, -v60
	v_fma_f32 v20, v12, v80, -v9
	v_fmac_f32_e32 v66, v13, v80
	v_fma_f32 v60, v22, v82, -v14
	v_fma_f32 v5, v42, v84, -v18
	v_fmac_f32_e32 v19, v43, v84
	v_fma_f32 v9, v48, v86, -v68
	v_fmac_f32_e32 v79, v49, v86
	;; [unrolled: 2-line block ×4, first 2 shown]
	v_add_f32_e32 v2, v46, v16
	v_add_f32_e32 v3, v6, v8
	v_sub_f32_e32 v10, v16, v6
	v_sub_f32_e32 v11, v64, v8
	v_add_f32_e32 v12, v16, v64
	v_sub_f32_e32 v13, v6, v16
	v_sub_f32_e32 v14, v8, v64
	v_add_f32_e32 v18, v47, v61
	v_add_f32_e32 v25, v63, v65
	v_sub_f32_e32 v43, v16, v64
	v_sub_f32_e32 v16, v61, v63
	;; [unrolled: 1-line block ×3, first 2 shown]
	v_add_f32_e32 v49, v44, v15
	v_fmac_f32_e32 v62, v27, v78
	v_fmac_f32_e32 v77, v23, v82
	v_sub_f32_e32 v22, v61, v67
	v_sub_f32_e32 v23, v63, v65
	v_add_f32_e32 v27, v61, v67
	v_sub_f32_e32 v40, v63, v61
	v_sub_f32_e32 v41, v65, v67
	v_add_f32_e32 v61, v24, v85
	v_add_f32_e32 v84, v45, v69
	;; [unrolled: 1-line block ×5, first 2 shown]
	v_fma_f32 v2, -0.5, v3, v46
	v_add_f32_e32 v117, v13, v14
	v_add_f32_e32 v11, v18, v63
	v_fma_f32 v3, -0.5, v25, v47
	v_add_f32_e32 v13, v5, v42
	v_add_f32_e32 v63, v16, v26
	;; [unrolled: 1-line block ×6, first 2 shown]
	v_sub_f32_e32 v76, v15, v24
	v_add_f32_e32 v80, v15, v72
	v_sub_f32_e32 v81, v24, v15
	v_sub_f32_e32 v87, v15, v72
	;; [unrolled: 1-line block ×4, first 2 shown]
	v_add_f32_e32 v90, v69, v75
	v_sub_f32_e32 v88, v24, v85
	v_add_f32_e32 v94, v0, v4
	v_add_f32_e32 v95, v7, v20
	v_sub_f32_e32 v98, v4, v7
	v_add_f32_e32 v100, v4, v60
	v_sub_f32_e32 v101, v7, v4
	v_add_f32_e32 v103, v1, v17
	v_add_f32_e32 v104, v62, v66
	v_sub_f32_e32 v105, v4, v60
	v_add_f32_e32 v109, v17, v77
	v_add_f32_e32 v111, v38, v5
	v_sub_f32_e32 v114, v19, v83
	v_sub_f32_e32 v116, v79, v70
	v_fmac_f32_e32 v47, -0.5, v27
	v_add_f32_e32 v118, v40, v41
	v_add_f32_e32 v18, v39, v19
	v_sub_f32_e32 v119, v5, v42
	v_fma_f32 v4, -0.5, v61, v44
	v_sub_f32_e32 v61, v9, v21
	v_sub_f32_e32 v27, v19, v79
	v_add_f32_e32 v40, v84, v71
	v_sub_f32_e32 v41, v83, v70
	v_fma_f32 v24, -0.5, v112, v38
	v_fmac_f32_e32 v38, -0.5, v13
	v_fma_f32 v25, -0.5, v25, v39
	v_fmac_f32_e32 v39, -0.5, v49
	v_sub_f32_e32 v48, v6, v8
	v_fma_f32 v46, -0.5, v12, v46
	v_sub_f32_e32 v10, v5, v9
	v_sub_f32_e32 v12, v42, v21
	;; [unrolled: 1-line block ×4, first 2 shown]
	v_fma_f32 v5, -0.5, v86, v45
	v_sub_f32_e32 v74, v71, v73
	v_sub_f32_e32 v69, v71, v69
	;; [unrolled: 1-line block ×4, first 2 shown]
	v_fma_f32 v44, -0.5, v80, v44
	v_sub_f32_e32 v19, v79, v19
	v_add_f32_e32 v71, v15, v89
	v_sub_f32_e32 v15, v70, v83
	v_fmac_f32_e32 v45, -0.5, v90
	v_sub_f32_e32 v78, v72, v85
	v_sub_f32_e32 v82, v85, v72
	;; [unrolled: 1-line block ×8, first 2 shown]
	v_add_f32_e32 v80, v94, v7
	v_fma_f32 v6, -0.5, v95, v0
	v_fma_f32 v0, -0.5, v100, v0
	v_add_f32_e32 v62, v103, v62
	v_fma_f32 v7, -0.5, v104, v1
	v_fmac_f32_e32 v1, -0.5, v109
	v_add_f32_e32 v89, v111, v9
	v_add_f32_e32 v79, v18, v79
	;; [unrolled: 1-line block ×4, first 2 shown]
	v_fmamk_f32 v8, v22, 0x3f737871, v2
	v_fmamk_f32 v9, v43, 0xbf737871, v3
	v_add_f32_e32 v85, v26, v85
	v_add_f32_e32 v73, v40, v73
	v_fmamk_f32 v26, v114, 0x3f737871, v24
	v_fmac_f32_e32 v24, 0xbf737871, v114
	v_fmamk_f32 v40, v116, 0xbf737871, v38
	v_fmac_f32_e32 v38, 0x3f737871, v116
	;; [unrolled: 2-line block ×4, first 2 shown]
	v_add_f32_e32 v90, v10, v12
	v_fmamk_f32 v10, v23, 0xbf737871, v46
	v_fmac_f32_e32 v46, 0x3f737871, v23
	v_add_f32_e32 v65, v11, v65
	v_fmamk_f32 v11, v48, 0x3f737871, v47
	v_fmac_f32_e32 v47, 0xbf737871, v48
	v_fmac_f32_e32 v2, 0xbf737871, v22
	;; [unrolled: 1-line block ×3, first 2 shown]
	v_fmamk_f32 v12, v68, 0x3f737871, v4
	v_fmamk_f32 v13, v87, 0xbf737871, v5
	v_add_f32_e32 v69, v69, v91
	v_add_f32_e32 v91, v14, v16
	;; [unrolled: 1-line block ×3, first 2 shown]
	v_fmamk_f32 v14, v74, 0xbf737871, v44
	v_fmac_f32_e32 v44, 0x3f737871, v74
	v_fmamk_f32 v15, v88, 0x3f737871, v45
	v_fmac_f32_e32 v45, 0xbf737871, v88
	v_sub_f32_e32 v99, v60, v20
	v_sub_f32_e32 v102, v20, v60
	;; [unrolled: 1-line block ×3, first 2 shown]
	v_add_f32_e32 v86, v17, v110
	v_fmac_f32_e32 v4, 0xbf737871, v68
	v_fmac_f32_e32 v5, 0x3f737871, v87
	v_fmamk_f32 v16, v96, 0x3f737871, v6
	v_fmac_f32_e32 v6, 0xbf737871, v96
	v_fmamk_f32 v18, v97, 0xbf737871, v0
	v_fmac_f32_e32 v0, 0x3f737871, v97
	v_add_f32_e32 v62, v62, v66
	v_fmamk_f32 v17, v105, 0xbf737871, v7
	v_fmac_f32_e32 v7, 0x3f737871, v105
	v_fmamk_f32 v19, v106, 0x3f737871, v1
	v_fmac_f32_e32 v1, 0xbf737871, v106
	v_add_f32_e32 v66, v89, v21
	v_add_f32_e32 v70, v79, v70
	v_fmac_f32_e32 v8, 0x3f167918, v23
	v_fmac_f32_e32 v9, 0xbf167918, v48
	v_fmac_f32_e32 v26, 0x3f167918, v116
	v_fmac_f32_e32 v24, 0xbf167918, v116
	v_fmac_f32_e32 v40, 0x3f167918, v114
	v_fmac_f32_e32 v38, 0xbf167918, v114
	v_fmac_f32_e32 v27, 0xbf167918, v61
	v_fmac_f32_e32 v25, 0x3f167918, v61
	v_fmac_f32_e32 v41, 0xbf167918, v119
	v_fmac_f32_e32 v39, 0x3f167918, v119
	v_fmac_f32_e32 v10, 0x3f167918, v22
	v_fmac_f32_e32 v46, 0xbf167918, v22
	v_fmac_f32_e32 v11, 0xbf167918, v43
	v_fmac_f32_e32 v47, 0x3f167918, v43
	v_fmac_f32_e32 v2, 0xbf167918, v23
	v_fmac_f32_e32 v3, 0x3f167918, v48
	v_add_f32_e32 v76, v76, v78
	v_fmac_f32_e32 v12, 0x3f167918, v74
	v_fmac_f32_e32 v13, 0xbf167918, v88
	v_add_f32_e32 v78, v81, v82
	v_fmac_f32_e32 v14, 0x3f167918, v68
	v_fmac_f32_e32 v44, 0xbf167918, v68
	;; [unrolled: 1-line block ×4, first 2 shown]
	v_add_f32_e32 v81, v98, v99
	v_add_f32_e32 v82, v101, v102
	;; [unrolled: 1-line block ×6, first 2 shown]
	v_fmac_f32_e32 v4, 0xbf167918, v74
	v_fmac_f32_e32 v5, 0x3f167918, v88
	;; [unrolled: 1-line block ×10, first 2 shown]
	v_add_f32_e32 v42, v66, v42
	v_add_f32_e32 v43, v70, v83
	v_fmac_f32_e32 v8, 0x3e9e377a, v115
	v_fmac_f32_e32 v9, 0x3e9e377a, v63
	;; [unrolled: 1-line block ×16, first 2 shown]
	v_add_f32_e32 v22, v85, v72
	v_add_f32_e32 v23, v73, v75
	v_fmac_f32_e32 v12, 0x3e9e377a, v76
	v_fmac_f32_e32 v13, 0x3e9e377a, v71
	;; [unrolled: 1-line block ×6, first 2 shown]
	v_add_f32_e32 v48, v80, v60
	v_add_f32_e32 v49, v62, v77
	v_fmac_f32_e32 v4, 0x3e9e377a, v76
	v_fmac_f32_e32 v5, 0x3e9e377a, v71
	;; [unrolled: 1-line block ×10, first 2 shown]
	ds_write2_b64 v57, v[20:21], v[8:9] offset1:5
	ds_write2_b64 v57, v[10:11], v[46:47] offset0:10 offset1:15
	ds_write_b64 v57, v[2:3] offset:160
	ds_write2_b64 v92, v[22:23], v[12:13] offset1:5
	ds_write2_b64 v92, v[14:15], v[44:45] offset0:10 offset1:15
	ds_write_b64 v92, v[4:5] offset:160
	;; [unrolled: 3-line block ×3, first 2 shown]
	s_and_saveexec_b32 s1, s0
	s_cbranch_execz .LBB0_19
; %bb.18:
	v_mul_lo_u16 v0, v52, 25
	v_lshlrev_b32_sdwa v1, v59, v53 dst_sel:DWORD dst_unused:UNUSED_PAD src0_sel:DWORD src1_sel:WORD_0
	v_lshlrev_b32_sdwa v0, v59, v0 dst_sel:DWORD dst_unused:UNUSED_PAD src0_sel:DWORD src1_sel:WORD_0
	v_add3_u32 v0, 0, v1, v0
	ds_write2_b64 v0, v[42:43], v[26:27] offset1:5
	ds_write2_b64 v0, v[40:41], v[38:39] offset0:10 offset1:15
	ds_write_b64 v0, v[24:25] offset:160
.LBB0_19:
	s_or_b32 exec_lo, exec_lo, s1
	v_add_nc_u32_e32 v0, 0xc00, v50
	v_add_nc_u32_e32 v1, 0x1400, v50
	;; [unrolled: 1-line block ×8, first 2 shown]
	s_waitcnt lgkmcnt(0)
	s_barrier
	buffer_gl0_inv
	ds_read2_b64 v[16:19], v0 offset0:16 offset1:141
	ds_read2_b64 v[0:3], v1 offset0:10 offset1:160
	;; [unrolled: 1-line block ×6, first 2 shown]
	ds_read_b64 v[48:49], v50
	ds_read_b64 v[46:47], v53
	;; [unrolled: 1-line block ×3, first 2 shown]
	s_and_saveexec_b32 s1, s0
	s_cbranch_execz .LBB0_21
; %bb.20:
	ds_read_b64 v[42:43], v51
	ds_read_b64 v[26:27], v50 offset:6200
	ds_read_b64 v[40:41], v50 offset:9400
	;; [unrolled: 1-line block ×4, first 2 shown]
.LBB0_21:
	s_or_b32 exec_lo, exec_lo, s1
	v_mul_lo_u16 v31, v54, 41
	v_mov_b32_e32 v70, 5
	v_mov_b32_e32 v83, 0x3e8
	;; [unrolled: 1-line block ×3, first 2 shown]
	v_lshrrev_b16 v35, 10, v31
	v_mul_lo_u16 v31, v55, 41
	v_mul_lo_u16 v54, v35, 25
	v_lshrrev_b16 v78, 10, v31
	v_mul_u32_u24_sdwa v35, v35, v83 dst_sel:DWORD dst_unused:UNUSED_PAD src0_sel:WORD_0 src1_sel:DWORD
	v_sub_nc_u16 v79, v30, v54
	v_mul_lo_u16 v31, v78, 25
	v_mul_u32_u24_sdwa v78, v78, v83 dst_sel:DWORD dst_unused:UNUSED_PAD src0_sel:WORD_0 src1_sel:DWORD
	v_lshlrev_b32_sdwa v58, v70, v79 dst_sel:DWORD dst_unused:UNUSED_PAD src0_sel:DWORD src1_sel:BYTE_0
	v_sub_nc_u16 v80, v34, v31
	v_lshlrev_b32_sdwa v79, v84, v79 dst_sel:DWORD dst_unused:UNUSED_PAD src0_sel:DWORD src1_sel:BYTE_0
	global_load_dwordx4 v[54:57], v58, s[12:13] offset:160
	v_lshlrev_b32_sdwa v31, v70, v80 dst_sel:DWORD dst_unused:UNUSED_PAD src0_sel:DWORD src1_sel:BYTE_0
	v_lshlrev_b32_sdwa v80, v84, v80 dst_sel:DWORD dst_unused:UNUSED_PAD src0_sel:DWORD src1_sel:BYTE_0
	v_add3_u32 v35, 0, v35, v79
	s_clause 0x2
	global_load_dwordx4 v[58:61], v58, s[12:13] offset:176
	global_load_dwordx4 v[62:65], v31, s[12:13] offset:160
	;; [unrolled: 1-line block ×3, first 2 shown]
	v_mov_b32_e32 v31, 0x47af
	v_add3_u32 v78, 0, v78, v80
	v_mul_u32_u24_sdwa v71, v37, v31 dst_sel:DWORD dst_unused:UNUSED_PAD src0_sel:WORD_0 src1_sel:DWORD
	v_lshrrev_b32_e32 v71, 16, v71
	v_sub_nc_u16 v72, v37, v71
	v_lshrrev_b16 v72, 1, v72
	v_add_nc_u16 v71, v72, v71
	v_lshrrev_b16 v81, 4, v71
	v_mul_lo_u16 v71, v81, 25
	v_mul_u32_u24_sdwa v79, v81, v83 dst_sel:DWORD dst_unused:UNUSED_PAD src0_sel:WORD_0 src1_sel:DWORD
	v_sub_nc_u16 v82, v37, v71
	v_lshlrev_b32_sdwa v74, v70, v82 dst_sel:DWORD dst_unused:UNUSED_PAD src0_sel:DWORD src1_sel:WORD_0
	v_lshlrev_b32_sdwa v81, v84, v82 dst_sel:DWORD dst_unused:UNUSED_PAD src0_sel:DWORD src1_sel:WORD_0
	s_clause 0x1
	global_load_dwordx4 v[70:73], v74, s[12:13] offset:160
	global_load_dwordx4 v[74:77], v74, s[12:13] offset:176
	v_add3_u32 v79, 0, v79, v81
	s_waitcnt vmcnt(0) lgkmcnt(0)
	s_barrier
	buffer_gl0_inv
	v_mul_f32_e32 v80, v55, v17
	v_mul_f32_e32 v55, v55, v16
	;; [unrolled: 1-line block ×15, first 2 shown]
	v_fma_f32 v16, v54, v16, -v80
	v_fmac_f32_e32 v55, v54, v17
	v_fma_f32 v2, v56, v2, -v81
	v_fmac_f32_e32 v57, v56, v3
	;; [unrolled: 2-line block ×4, first 2 shown]
	v_mul_f32_e32 v63, v63, v18
	v_fma_f32 v3, v62, v18, -v84
	v_fma_f32 v6, v64, v12, -v85
	v_fmac_f32_e32 v65, v64, v13
	v_fma_f32 v18, v66, v22, -v86
	v_fmac_f32_e32 v67, v66, v23
	;; [unrolled: 2-line block ×3, first 2 shown]
	v_add_f32_e32 v7, v48, v16
	v_add_f32_e32 v8, v2, v17
	v_sub_f32_e32 v9, v16, v2
	v_sub_f32_e32 v12, v20, v17
	v_add_f32_e32 v56, v49, v55
	v_add_f32_e32 v58, v57, v59
	;; [unrolled: 1-line block ×4, first 2 shown]
	v_fmac_f32_e32 v63, v62, v19
	v_sub_f32_e32 v19, v2, v16
	v_sub_f32_e32 v60, v16, v20
	;; [unrolled: 1-line block ×4, first 2 shown]
	v_add_f32_e32 v80, v46, v3
	v_add_f32_e32 v81, v6, v18
	;; [unrolled: 1-line block ×3, first 2 shown]
	v_sub_f32_e32 v21, v55, v61
	v_sub_f32_e32 v62, v2, v17
	;; [unrolled: 1-line block ×5, first 2 shown]
	v_add_f32_e32 v86, v3, v22
	v_sub_f32_e32 v87, v6, v3
	v_sub_f32_e32 v91, v3, v22
	v_add_f32_e32 v97, v7, v2
	v_fma_f32 v2, -0.5, v8, v48
	v_add_f32_e32 v98, v9, v12
	v_add_f32_e32 v9, v56, v57
	v_fma_f32 v3, -0.5, v58, v49
	v_sub_f32_e32 v23, v57, v59
	v_sub_f32_e32 v85, v22, v18
	v_fma_f32 v48, -0.5, v13, v48
	v_fmac_f32_e32 v49, -0.5, v66
	v_sub_f32_e32 v54, v17, v20
	v_sub_f32_e32 v82, v63, v69
	v_add_f32_e32 v89, v47, v63
	v_sub_f32_e32 v92, v6, v18
	v_add_f32_e32 v56, v16, v64
	v_add_f32_e32 v16, v80, v6
	v_fma_f32 v6, -0.5, v81, v46
	v_fma_f32 v7, -0.5, v90, v47
	v_add_f32_e32 v95, v63, v69
	v_add_f32_e32 v55, v55, v68
	v_fmamk_f32 v8, v21, 0x3f737871, v2
	v_add_f32_e32 v59, v9, v59
	v_fmamk_f32 v9, v60, 0xbf737871, v3
	v_mul_f32_e32 v68, v1, v71
	v_mul_f32_e32 v71, v0, v71
	;; [unrolled: 1-line block ×6, first 2 shown]
	v_add_f32_e32 v57, v84, v85
	v_fmamk_f32 v12, v23, 0xbf737871, v48
	v_fmac_f32_e32 v48, 0x3f737871, v23
	v_fmac_f32_e32 v3, 0x3f737871, v60
	v_fmamk_f32 v13, v62, 0x3f737871, v49
	v_fmac_f32_e32 v49, 0xbf737871, v62
	v_mul_f32_e32 v84, v11, v77
	v_mul_f32_e32 v77, v10, v77
	v_fmac_f32_e32 v2, 0xbf737871, v21
	v_sub_f32_e32 v83, v65, v67
	v_sub_f32_e32 v93, v63, v65
	;; [unrolled: 1-line block ×4, first 2 shown]
	v_add_f32_e32 v54, v19, v54
	v_add_f32_e32 v19, v89, v65
	;; [unrolled: 1-line block ×4, first 2 shown]
	v_fmamk_f32 v16, v82, 0x3f737871, v6
	v_fmamk_f32 v17, v91, 0xbf737871, v7
	v_fmac_f32_e32 v47, -0.5, v95
	v_fmac_f32_e32 v6, 0xbf737871, v82
	v_fmac_f32_e32 v8, 0x3f167918, v23
	;; [unrolled: 1-line block ×3, first 2 shown]
	v_fma_f32 v0, v0, v70, -v68
	v_fmac_f32_e32 v71, v1, v70
	v_fma_f32 v1, v14, v72, -v80
	v_fmac_f32_e32 v73, v15, v72
	;; [unrolled: 2-line block ×3, first 2 shown]
	v_fma_f32 v46, -0.5, v86, v46
	v_fmac_f32_e32 v12, 0x3f167918, v21
	v_fmac_f32_e32 v48, 0xbf167918, v21
	;; [unrolled: 1-line block ×5, first 2 shown]
	v_fma_f32 v10, v10, v76, -v84
	v_fmac_f32_e32 v77, v11, v76
	v_fmac_f32_e32 v2, 0xbf167918, v23
	v_sub_f32_e32 v96, v67, v69
	v_add_f32_e32 v64, v93, v94
	v_add_f32_e32 v67, v19, v67
	v_fmac_f32_e32 v16, 0x3f167918, v83
	v_fmac_f32_e32 v17, 0xbf167918, v92
	;; [unrolled: 1-line block ×3, first 2 shown]
	v_fmamk_f32 v19, v92, 0x3f737871, v47
	v_fmac_f32_e32 v47, 0xbf737871, v92
	v_add_f32_e32 v20, v65, v20
	v_add_f32_e32 v21, v59, v61
	v_fmac_f32_e32 v6, 0xbf167918, v83
	v_fmac_f32_e32 v8, 0x3e9e377a, v98
	;; [unrolled: 1-line block ×3, first 2 shown]
	v_add_f32_e32 v5, v44, v0
	v_add_f32_e32 v11, v1, v4
	;; [unrolled: 1-line block ×4, first 2 shown]
	v_sub_f32_e32 v88, v18, v22
	v_fmamk_f32 v18, v83, 0xbf737871, v46
	v_fmac_f32_e32 v46, 0x3f737871, v83
	v_fmac_f32_e32 v12, 0x3e9e377a, v54
	;; [unrolled: 1-line block ×6, first 2 shown]
	v_add_f32_e32 v56, v0, v10
	v_add_f32_e32 v65, v71, v77
	v_fmac_f32_e32 v2, 0x3e9e377a, v98
	v_add_f32_e32 v22, v66, v22
	v_add_f32_e32 v23, v67, v69
	v_fmac_f32_e32 v16, 0x3e9e377a, v57
	v_fmac_f32_e32 v17, 0x3e9e377a, v64
	v_add_f32_e32 v63, v63, v96
	v_fmac_f32_e32 v7, 0x3f167918, v92
	v_fmac_f32_e32 v19, 0xbf167918, v91
	;; [unrolled: 1-line block ×4, first 2 shown]
	v_sub_f32_e32 v14, v71, v77
	v_sub_f32_e32 v54, v0, v1
	;; [unrolled: 1-line block ×5, first 2 shown]
	ds_write2_b64 v35, v[20:21], v[8:9] offset1:25
	ds_write2_b64 v35, v[12:13], v[48:49] offset0:50 offset1:75
	ds_write_b64 v35, v[2:3] offset:800
	ds_write2_b64 v78, v[22:23], v[16:17] offset1:25
	v_add_f32_e32 v2, v5, v1
	v_fma_f32 v0, -0.5, v11, v44
	v_add_f32_e32 v3, v59, v73
	v_fma_f32 v1, -0.5, v60, v45
	v_add_f32_e32 v58, v87, v88
	v_fmac_f32_e32 v18, 0x3f167918, v82
	v_fmac_f32_e32 v46, 0xbf167918, v82
	v_sub_f32_e32 v15, v73, v75
	v_fma_f32 v44, -0.5, v56, v44
	v_fmac_f32_e32 v45, -0.5, v65
	v_fmac_f32_e32 v7, 0x3e9e377a, v64
	v_fmac_f32_e32 v19, 0x3e9e377a, v63
	;; [unrolled: 1-line block ×3, first 2 shown]
	v_sub_f32_e32 v55, v10, v4
	v_sub_f32_e32 v63, v71, v73
	;; [unrolled: 1-line block ×3, first 2 shown]
	v_add_f32_e32 v8, v2, v4
	v_fmamk_f32 v2, v14, 0x3f737871, v0
	v_add_f32_e32 v9, v3, v75
	v_fmamk_f32 v3, v61, 0xbf737871, v1
	v_fmac_f32_e32 v18, 0x3e9e377a, v58
	v_fmac_f32_e32 v46, 0x3e9e377a, v58
	v_sub_f32_e32 v58, v4, v10
	v_sub_f32_e32 v66, v73, v71
	;; [unrolled: 1-line block ×3, first 2 shown]
	v_fmamk_f32 v4, v15, 0xbf737871, v44
	v_fmac_f32_e32 v44, 0x3f737871, v15
	v_fmamk_f32 v5, v62, 0x3f737871, v45
	v_fmac_f32_e32 v45, 0xbf737871, v62
	v_fmac_f32_e32 v0, 0xbf737871, v14
	;; [unrolled: 1-line block ×3, first 2 shown]
	v_add_f32_e32 v11, v54, v55
	v_add_f32_e32 v13, v63, v64
	v_fmac_f32_e32 v2, 0x3f167918, v15
	v_fmac_f32_e32 v3, 0xbf167918, v62
	v_add_f32_e32 v12, v57, v58
	v_add_f32_e32 v16, v66, v67
	v_fmac_f32_e32 v4, 0x3f167918, v14
	v_fmac_f32_e32 v44, 0xbf167918, v14
	;; [unrolled: 1-line block ×6, first 2 shown]
	v_add_f32_e32 v8, v8, v10
	v_add_f32_e32 v9, v9, v77
	v_fmac_f32_e32 v2, 0x3e9e377a, v11
	v_fmac_f32_e32 v3, 0x3e9e377a, v13
	;; [unrolled: 1-line block ×8, first 2 shown]
	ds_write2_b64 v78, v[18:19], v[46:47] offset0:50 offset1:75
	ds_write_b64 v78, v[6:7] offset:800
	ds_write2_b64 v79, v[8:9], v[2:3] offset1:25
	ds_write2_b64 v79, v[4:5], v[44:45] offset0:50 offset1:75
	ds_write_b64 v79, v[0:1] offset:800
	s_and_saveexec_b32 s1, s0
	s_cbranch_execz .LBB0_23
; %bb.22:
	v_mul_u32_u24_sdwa v0, v36, v31 dst_sel:DWORD dst_unused:UNUSED_PAD src0_sel:WORD_0 src1_sel:DWORD
	v_lshrrev_b32_e32 v0, 16, v0
	v_sub_nc_u16 v1, v36, v0
	v_lshrrev_b16 v1, 1, v1
	v_add_nc_u16 v0, v1, v0
	v_lshrrev_b16 v0, 4, v0
	v_mul_lo_u16 v0, v0, 25
	v_sub_nc_u16 v0, v36, v0
	v_and_b32_e32 v8, 0xffff, v0
	v_lshlrev_b32_e32 v4, 5, v8
	v_lshl_add_u32 v10, v8, 3, 0
	s_clause 0x1
	global_load_dwordx4 v[0:3], v4, s[12:13] offset:160
	global_load_dwordx4 v[4:7], v4, s[12:13] offset:176
	v_add_nc_u32_e32 v11, 0x3800, v10
	s_waitcnt vmcnt(1)
	v_mul_f32_e32 v8, v40, v3
	v_mul_f32_e32 v9, v26, v1
	s_waitcnt vmcnt(0)
	v_mul_f32_e32 v12, v38, v5
	v_mul_f32_e32 v13, v24, v7
	;; [unrolled: 1-line block ×6, first 2 shown]
	v_fmac_f32_e32 v8, v41, v2
	v_fmac_f32_e32 v9, v27, v0
	;; [unrolled: 1-line block ×4, first 2 shown]
	v_fma_f32 v14, v24, v6, -v7
	v_fma_f32 v6, v40, v2, -v3
	;; [unrolled: 1-line block ×4, first 2 shown]
	v_sub_f32_e32 v1, v8, v9
	v_sub_f32_e32 v2, v12, v13
	v_add_f32_e32 v3, v9, v13
	v_add_f32_e32 v7, v8, v12
	;; [unrolled: 1-line block ×3, first 2 shown]
	v_sub_f32_e32 v4, v9, v8
	v_sub_f32_e32 v5, v13, v12
	v_add_f32_e32 v18, v43, v9
	v_add_f32_e32 v21, v0, v14
	v_sub_f32_e32 v16, v0, v14
	v_sub_f32_e32 v23, v9, v13
	v_add_f32_e32 v26, v42, v0
	v_add_f32_e32 v27, v1, v2
	v_fma_f32 v1, -0.5, v3, v43
	v_fma_f32 v3, -0.5, v7, v43
	;; [unrolled: 1-line block ×3, first 2 shown]
	v_sub_f32_e32 v17, v6, v15
	v_sub_f32_e32 v19, v6, v0
	;; [unrolled: 1-line block ×6, first 2 shown]
	v_add_f32_e32 v31, v4, v5
	v_add_f32_e32 v4, v18, v8
	v_fma_f32 v0, -0.5, v21, v42
	v_add_f32_e32 v8, v26, v6
	v_fmamk_f32 v7, v16, 0x3f737871, v3
	v_fmac_f32_e32 v3, 0xbf737871, v16
	v_fmamk_f32 v6, v23, 0xbf737871, v2
	v_fmac_f32_e32 v2, 0x3f737871, v23
	v_add_f32_e32 v18, v19, v20
	v_add_f32_e32 v19, v9, v24
	v_fmamk_f32 v5, v17, 0xbf737871, v1
	v_fmac_f32_e32 v1, 0x3f737871, v17
	v_add_f32_e32 v9, v4, v12
	v_fmamk_f32 v4, v22, 0x3f737871, v0
	v_fmac_f32_e32 v0, 0xbf737871, v22
	v_add_f32_e32 v8, v8, v15
	v_fmac_f32_e32 v3, 0xbf167918, v17
	v_fmac_f32_e32 v2, 0x3f167918, v22
	;; [unrolled: 1-line block ×8, first 2 shown]
	v_add_f32_e32 v9, v9, v13
	v_add_f32_e32 v8, v8, v14
	v_fmac_f32_e32 v3, 0x3e9e377a, v31
	v_fmac_f32_e32 v2, 0x3e9e377a, v19
	;; [unrolled: 1-line block ×8, first 2 shown]
	ds_write2_b64 v11, v[8:9], v[2:3] offset0:83 offset1:108
	ds_write2_b64 v11, v[0:1], v[4:5] offset0:133 offset1:158
	ds_write_b64 v10, v[6:7] offset:15800
.LBB0_23:
	s_or_b32 exec_lo, exec_lo, s1
	v_mul_u32_u24_e32 v0, 15, v30
	s_waitcnt lgkmcnt(0)
	s_barrier
	buffer_gl0_inv
	v_add_nc_u32_e32 v35, 0x1400, v50
	v_lshlrev_b32_e32 v31, 3, v0
	v_add_nc_u32_e32 v76, 0x1c00, v50
	v_add_nc_u32_e32 v77, 0x2400, v50
	;; [unrolled: 1-line block ×4, first 2 shown]
	s_clause 0x7
	global_load_dwordx4 v[0:3], v31, s[12:13] offset:960
	global_load_dwordx4 v[4:7], v31, s[12:13] offset:976
	;; [unrolled: 1-line block ×7, first 2 shown]
	global_load_dwordx2 v[66:67], v31, s[12:13] offset:1072
	v_add_nc_u32_e32 v31, 0xc00, v50
	ds_read_b64 v[68:69], v53
	ds_read_b64 v[70:71], v52
	;; [unrolled: 1-line block ×4, first 2 shown]
	ds_read2_b64 v[42:45], v35 offset0:110 offset1:235
	v_add_nc_u32_e32 v80, 0x400, v50
	ds_read2_b64 v[38:41], v31 offset0:116 offset1:241
	ds_read2_b64 v[46:49], v76 offset0:104 offset1:229
	;; [unrolled: 1-line block ×5, first 2 shown]
	s_waitcnt vmcnt(0) lgkmcnt(0)
	s_barrier
	buffer_gl0_inv
	s_add_u32 s1, s12, 0x3e58
	s_addc_u32 s4, s13, 0
	s_mov_b32 s5, exec_lo
	v_mul_f32_e32 v81, v1, v69
	v_mul_f32_e32 v1, v1, v68
	;; [unrolled: 1-line block ×30, first 2 shown]
	v_fma_f32 v68, v0, v68, -v81
	v_fmac_f32_e32 v1, v0, v69
	v_fma_f32 v0, v2, v70, -v82
	v_fmac_f32_e32 v3, v2, v71
	;; [unrolled: 2-line block ×15, first 2 shown]
	v_sub_f32_e32 v12, v72, v12
	v_sub_f32_e32 v15, v73, v15
	;; [unrolled: 1-line block ×16, first 2 shown]
	v_fma_f32 v39, v72, 2.0, -v12
	v_fma_f32 v40, v73, 2.0, -v15
	;; [unrolled: 1-line block ×16, first 2 shown]
	v_sub_f32_e32 v23, v12, v23
	v_add_f32_e32 v20, v15, v20
	v_sub_f32_e32 v27, v16, v27
	v_add_f32_e32 v24, v19, v24
	;; [unrolled: 2-line block ×4, first 2 shown]
	v_sub_f32_e32 v4, v39, v4
	v_sub_f32_e32 v7, v40, v7
	v_fma_f32 v12, v12, 2.0, -v23
	v_fma_f32 v15, v15, 2.0, -v20
	v_sub_f32_e32 v8, v0, v8
	v_sub_f32_e32 v11, v3, v11
	v_fma_f32 v16, v16, 2.0, -v27
	v_fma_f32 v19, v19, 2.0, -v24
	;; [unrolled: 4-line block ×4, first 2 shown]
	v_fmamk_f32 v42, v27, 0x3f3504f3, v23
	v_fmamk_f32 v43, v24, 0x3f3504f3, v20
	;; [unrolled: 1-line block ×4, first 2 shown]
	v_fma_f32 v39, v39, 2.0, -v4
	v_fma_f32 v40, v40, 2.0, -v7
	;; [unrolled: 1-line block ×8, first 2 shown]
	v_fmamk_f32 v47, v16, 0xbf3504f3, v12
	v_fmamk_f32 v48, v19, 0xbf3504f3, v15
	v_fmac_f32_e32 v42, 0xbf3504f3, v24
	v_fmac_f32_e32 v43, 0x3f3504f3, v27
	v_fmamk_f32 v24, v18, 0xbf3504f3, v14
	v_fmamk_f32 v27, v21, 0xbf3504f3, v17
	v_sub_f32_e32 v49, v4, v11
	v_add_f32_e32 v54, v7, v8
	v_sub_f32_e32 v13, v6, v13
	v_add_f32_e32 v55, v9, v10
	v_fmac_f32_e32 v44, 0xbf3504f3, v26
	v_fmac_f32_e32 v45, 0x3f3504f3, v38
	v_sub_f32_e32 v26, v39, v0
	v_sub_f32_e32 v38, v40, v3
	v_fmac_f32_e32 v47, 0xbf3504f3, v19
	v_fmac_f32_e32 v48, 0x3f3504f3, v16
	v_sub_f32_e32 v10, v41, v1
	v_sub_f32_e32 v8, v46, v2
	v_fmac_f32_e32 v24, 0xbf3504f3, v21
	v_fmac_f32_e32 v27, 0x3f3504f3, v18
	v_fma_f32 v56, v4, 2.0, -v49
	v_fma_f32 v57, v7, 2.0, -v54
	;; [unrolled: 1-line block ×8, first 2 shown]
	v_fmamk_f32 v0, v13, 0x3f3504f3, v49
	v_fmamk_f32 v1, v55, 0x3f3504f3, v54
	;; [unrolled: 1-line block ×4, first 2 shown]
	v_fma_f32 v22, v39, 2.0, -v26
	v_fma_f32 v25, v40, 2.0, -v38
	;; [unrolled: 1-line block ×8, first 2 shown]
	v_fmamk_f32 v4, v16, 0xbf3504f3, v56
	v_fmamk_f32 v5, v18, 0xbf3504f3, v57
	;; [unrolled: 1-line block ×4, first 2 shown]
	v_add_f32_e32 v9, v38, v10
	v_fmamk_f32 v10, v24, 0x3ec3ef15, v47
	v_fmamk_f32 v11, v27, 0x3ec3ef15, v48
	v_fmac_f32_e32 v0, 0xbf3504f3, v55
	v_fmac_f32_e32 v1, 0x3f3504f3, v13
	;; [unrolled: 1-line block ×4, first 2 shown]
	v_sub_f32_e32 v13, v25, v15
	v_fmamk_f32 v14, v41, 0xbf6c835e, v39
	v_fmamk_f32 v15, v46, 0xbf6c835e, v40
	v_sub_f32_e32 v12, v22, v12
	v_fmac_f32_e32 v4, 0xbf3504f3, v18
	v_fmac_f32_e32 v5, 0x3f3504f3, v16
	;; [unrolled: 1-line block ×4, first 2 shown]
	v_sub_f32_e32 v8, v26, v8
	v_fmac_f32_e32 v10, 0xbf6c835e, v27
	v_fmac_f32_e32 v11, 0x3f6c835e, v24
	v_fma_f32 v18, v49, 2.0, -v0
	v_fma_f32 v19, v54, 2.0, -v1
	;; [unrolled: 1-line block ×4, first 2 shown]
	v_fmac_f32_e32 v14, 0xbec3ef15, v46
	v_fmac_f32_e32 v15, 0x3ec3ef15, v41
	ds_write2_b64 v79, v[0:1], v[2:3] offset0:86 offset1:211
	v_fma_f32 v0, v22, 2.0, -v12
	v_fma_f32 v2, v56, 2.0, -v4
	;; [unrolled: 1-line block ×10, first 2 shown]
	ds_write2_b64 v35, v[18:19], v[20:21] offset0:110 offset1:235
	ds_write2_b64 v77, v[4:5], v[6:7] offset0:98 offset1:223
	v_fma_f32 v4, v39, 2.0, -v14
	v_fma_f32 v5, v40, 2.0, -v15
	ds_write2_b64 v78, v[8:9], v[10:11] offset0:92 offset1:217
	ds_write2_b64 v80, v[2:3], v[22:23] offset0:122 offset1:247
	;; [unrolled: 1-line block ×4, first 2 shown]
	ds_write2_b64 v50, v[0:1], v[4:5] offset1:125
	s_waitcnt lgkmcnt(0)
	s_barrier
	buffer_gl0_inv
	ds_read_b64 v[2:3], v50
	v_lshlrev_b32_e32 v0, 3, v30
                                        ; implicit-def: $vgpr5
                                        ; implicit-def: $vgpr6
	v_sub_nc_u32_e32 v4, 0, v0
                                        ; implicit-def: $vgpr0
	v_cmpx_ne_u32_e32 0, v30
	s_xor_b32 s5, exec_lo, s5
	s_cbranch_execz .LBB0_25
; %bb.24:
	v_mov_b32_e32 v31, 0
	v_lshlrev_b64 v[0:1], 3, v[30:31]
	v_add_co_u32 v0, s0, s1, v0
	v_add_co_ci_u32_e64 v1, s0, s4, v1, s0
	global_load_dwordx2 v[7:8], v[0:1], off
	ds_read_b64 v[0:1], v4 offset:16000
	s_waitcnt lgkmcnt(0)
	v_sub_f32_e32 v5, v2, v0
	v_add_f32_e32 v6, v1, v3
	v_sub_f32_e32 v1, v3, v1
	v_add_f32_e32 v0, v0, v2
	v_mul_f32_e32 v3, 0.5, v5
	v_mul_f32_e32 v2, 0.5, v6
	;; [unrolled: 1-line block ×3, first 2 shown]
	s_waitcnt vmcnt(0)
	v_mul_f32_e32 v6, v8, v3
	v_fma_f32 v9, v2, v8, v1
	v_fma_f32 v1, v2, v8, -v1
	v_fma_f32 v5, 0.5, v0, v6
	v_fma_f32 v0, v0, 0.5, -v6
	v_fma_f32 v6, -v7, v3, v9
	v_fma_f32 v1, -v7, v3, v1
	v_fmac_f32_e32 v5, v7, v2
	v_fma_f32 v0, -v7, v2, v0
                                        ; implicit-def: $vgpr2_vgpr3
.LBB0_25:
	s_andn2_saveexec_b32 s0, s5
	s_cbranch_execz .LBB0_27
; %bb.26:
	v_mov_b32_e32 v6, 0
	s_waitcnt lgkmcnt(0)
	v_add_f32_e32 v5, v2, v3
	v_sub_f32_e32 v0, v2, v3
	ds_read_b32 v1, v6 offset:8004
	s_waitcnt lgkmcnt(0)
	v_xor_b32_e32 v2, 0x80000000, v1
	v_mov_b32_e32 v1, 0
	ds_write_b32 v6, v2 offset:8004
.LBB0_27:
	s_or_b32 exec_lo, exec_lo, s0
	v_mov_b32_e32 v35, 0
	s_waitcnt lgkmcnt(0)
	v_lshlrev_b64 v[2:3], 3, v[34:35]
	v_mov_b32_e32 v38, v35
	v_add_nc_u32_e32 v34, 0x1f4, v30
	v_lshlrev_b64 v[7:8], 3, v[37:38]
	v_add_co_u32 v2, s0, s1, v2
	v_add_co_ci_u32_e64 v3, s0, s4, v3, s0
	v_mov_b32_e32 v37, v35
	v_add_co_u32 v7, s0, s1, v7
	global_load_dwordx2 v[2:3], v[2:3], off
	v_add_co_ci_u32_e64 v8, s0, s4, v8, s0
	v_lshlrev_b64 v[9:10], 3, v[36:37]
	v_lshlrev_b64 v[11:12], 3, v[34:35]
	v_add_nc_u32_e32 v34, 0x271, v30
	global_load_dwordx2 v[7:8], v[7:8], off
	v_add_co_u32 v9, s0, s1, v9
	v_add_co_ci_u32_e64 v10, s0, s4, v10, s0
	v_add_co_u32 v11, s0, s1, v11
	v_add_co_ci_u32_e64 v12, s0, s4, v12, s0
	global_load_dwordx2 v[9:10], v[9:10], off
	v_lshlrev_b64 v[13:14], 3, v[34:35]
	v_add_nc_u32_e32 v34, 0x2ee, v30
	global_load_dwordx2 v[11:12], v[11:12], off
	v_add_co_u32 v13, s0, s1, v13
	v_add_co_ci_u32_e64 v14, s0, s4, v14, s0
	v_lshlrev_b64 v[15:16], 3, v[34:35]
	v_add_nc_u32_e32 v34, 0x36b, v30
	global_load_dwordx2 v[13:14], v[13:14], off
	v_add_co_u32 v15, s0, s1, v15
	v_add_co_ci_u32_e64 v16, s0, s4, v16, s0
	v_lshlrev_b64 v[17:18], 3, v[34:35]
	global_load_dwordx2 v[15:16], v[15:16], off
	ds_write2_b32 v50, v5, v6 offset1:1
	ds_write_b64 v4, v[0:1] offset:16000
	v_add_co_u32 v17, s0, s1, v17
	v_add_co_ci_u32_e64 v18, s0, s4, v18, s0
	global_load_dwordx2 v[0:1], v[17:18], off
	ds_read_b64 v[5:6], v53
	ds_read_b64 v[17:18], v4 offset:15000
	s_waitcnt lgkmcnt(0)
	v_sub_f32_e32 v19, v5, v17
	v_add_f32_e32 v20, v6, v18
	v_sub_f32_e32 v6, v6, v18
	v_add_f32_e32 v5, v5, v17
	v_mul_f32_e32 v18, 0.5, v19
	v_mul_f32_e32 v19, 0.5, v20
	;; [unrolled: 1-line block ×3, first 2 shown]
	s_waitcnt vmcnt(6)
	v_mul_f32_e32 v17, v3, v18
	v_fma_f32 v20, v19, v3, v6
	v_fma_f32 v3, v19, v3, -v6
	v_fma_f32 v6, 0.5, v5, v17
	v_fma_f32 v5, v5, 0.5, -v17
	v_fma_f32 v17, -v2, v18, v20
	v_fma_f32 v3, -v2, v18, v3
	v_fmac_f32_e32 v6, v2, v19
	v_fma_f32 v2, -v2, v19, v5
	ds_write_b32 v53, v17 offset:4
	ds_write_b32 v4, v3 offset:15004
	ds_write_b32 v53, v6
	ds_write_b32 v4, v2 offset:15000
	ds_read_b64 v[2:3], v52
	ds_read_b64 v[5:6], v4 offset:14000
	s_waitcnt lgkmcnt(0)
	v_sub_f32_e32 v17, v2, v5
	v_add_f32_e32 v18, v3, v6
	v_sub_f32_e32 v3, v3, v6
	v_add_f32_e32 v2, v2, v5
	v_mul_f32_e32 v6, 0.5, v17
	v_mul_f32_e32 v17, 0.5, v18
	;; [unrolled: 1-line block ×3, first 2 shown]
	s_waitcnt vmcnt(5)
	v_mul_f32_e32 v5, v8, v6
	v_fma_f32 v18, v17, v8, v3
	v_fma_f32 v3, v17, v8, -v3
	v_fma_f32 v8, 0.5, v2, v5
	v_fma_f32 v2, v2, 0.5, -v5
	v_fma_f32 v5, -v7, v6, v18
	v_fma_f32 v3, -v7, v6, v3
	v_fmac_f32_e32 v8, v7, v17
	v_fma_f32 v2, -v7, v17, v2
	ds_write_b32 v52, v5 offset:4
	ds_write_b32 v4, v3 offset:14004
	ds_write_b32 v52, v8
	ds_write_b32 v4, v2 offset:14000
	ds_read_b64 v[2:3], v51
	ds_read_b64 v[5:6], v4 offset:13000
	s_waitcnt lgkmcnt(0)
	v_sub_f32_e32 v7, v2, v5
	v_add_f32_e32 v8, v3, v6
	v_sub_f32_e32 v3, v3, v6
	v_add_f32_e32 v2, v2, v5
	v_mul_f32_e32 v6, 0.5, v7
	v_mul_f32_e32 v7, 0.5, v8
	;; [unrolled: 1-line block ×3, first 2 shown]
	s_waitcnt vmcnt(4)
	v_mul_f32_e32 v5, v10, v6
	v_fma_f32 v8, v7, v10, v3
	v_fma_f32 v3, v7, v10, -v3
	v_fma_f32 v10, 0.5, v2, v5
	v_fma_f32 v2, v2, 0.5, -v5
	v_fma_f32 v5, -v9, v6, v8
	v_fma_f32 v3, -v9, v6, v3
	v_fmac_f32_e32 v10, v9, v7
	v_fma_f32 v2, -v9, v7, v2
	ds_write2_b32 v51, v10, v5 offset1:1
	ds_write_b64 v4, v[2:3] offset:13000
	ds_read_b64 v[2:3], v50 offset:4000
	ds_read_b64 v[5:6], v4 offset:12000
	s_waitcnt lgkmcnt(0)
	v_sub_f32_e32 v7, v2, v5
	v_add_f32_e32 v8, v3, v6
	v_sub_f32_e32 v3, v3, v6
	v_add_f32_e32 v2, v2, v5
	v_mul_f32_e32 v6, 0.5, v7
	v_mul_f32_e32 v7, 0.5, v8
	v_mul_f32_e32 v3, 0.5, v3
	s_waitcnt vmcnt(3)
	v_mul_f32_e32 v5, v12, v6
	v_fma_f32 v8, v7, v12, v3
	v_fma_f32 v3, v7, v12, -v3
	v_fma_f32 v9, 0.5, v2, v5
	v_fma_f32 v2, v2, 0.5, -v5
	v_add_nc_u32_e32 v5, 0xc00, v50
	v_fma_f32 v8, -v11, v6, v8
	v_fma_f32 v3, -v11, v6, v3
	v_fmac_f32_e32 v9, v11, v7
	v_fma_f32 v2, -v11, v7, v2
	ds_write2_b32 v5, v9, v8 offset0:232 offset1:233
	ds_write_b64 v4, v[2:3] offset:12000
	ds_read_b64 v[2:3], v50 offset:5000
	ds_read_b64 v[5:6], v4 offset:11000
	s_waitcnt lgkmcnt(0)
	v_sub_f32_e32 v7, v2, v5
	v_add_f32_e32 v8, v3, v6
	v_sub_f32_e32 v3, v3, v6
	v_add_f32_e32 v2, v2, v5
	v_mul_f32_e32 v6, 0.5, v7
	v_mul_f32_e32 v7, 0.5, v8
	v_mul_f32_e32 v3, 0.5, v3
	s_waitcnt vmcnt(2)
	v_mul_f32_e32 v5, v14, v6
	v_fma_f32 v8, v7, v14, v3
	v_fma_f32 v3, v7, v14, -v3
	v_fma_f32 v9, 0.5, v2, v5
	v_fma_f32 v2, v2, 0.5, -v5
	v_add_nc_u32_e32 v5, 0x1000, v50
	v_fma_f32 v8, -v13, v6, v8
	v_fma_f32 v3, -v13, v6, v3
	v_fmac_f32_e32 v9, v13, v7
	v_fma_f32 v2, -v13, v7, v2
	ds_write2_b32 v5, v9, v8 offset0:226 offset1:227
	;; [unrolled: 23-line block ×4, first 2 shown]
	ds_write_b64 v4, v[0:1] offset:9000
	s_waitcnt lgkmcnt(0)
	s_barrier
	buffer_gl0_inv
	s_and_saveexec_b32 s0, vcc_lo
	s_cbranch_execz .LBB0_30
; %bb.28:
	v_mul_lo_u32 v2, s3, v32
	v_mul_lo_u32 v3, s2, v33
	v_mad_u64_u32 v[0:1], null, s2, v32, 0
	v_lshl_add_u32 v24, v30, 3, 0
	v_mov_b32_e32 v31, v35
	v_lshlrev_b64 v[10:11], 3, v[28:29]
	v_add_nc_u32_e32 v34, 0x7d, v30
	v_add_nc_u32_e32 v6, 0x400, v24
	v_add3_u32 v1, v1, v3, v2
	ds_read2_b64 v[2:5], v24 offset1:125
	v_lshlrev_b64 v[12:13], 3, v[30:31]
	v_lshlrev_b64 v[14:15], 3, v[34:35]
	ds_read2_b64 v[6:9], v6 offset0:122 offset1:247
	v_lshlrev_b64 v[0:1], 3, v[0:1]
	v_add_nc_u32_e32 v34, 0xfa, v30
	v_add_nc_u32_e32 v18, 0xc00, v24
	v_add_co_u32 v0, vcc_lo, s10, v0
	v_add_co_ci_u32_e32 v1, vcc_lo, s11, v1, vcc_lo
	v_add_co_u32 v0, vcc_lo, v0, v10
	v_add_co_ci_u32_e32 v1, vcc_lo, v1, v11, vcc_lo
	v_lshlrev_b64 v[10:11], 3, v[34:35]
	v_add_co_u32 v12, vcc_lo, v0, v12
	v_add_co_ci_u32_e32 v13, vcc_lo, v1, v13, vcc_lo
	v_add_co_u32 v14, vcc_lo, v0, v14
	v_add_co_ci_u32_e32 v15, vcc_lo, v1, v15, vcc_lo
	v_add_nc_u32_e32 v34, 0x177, v30
	v_add_co_u32 v10, vcc_lo, v0, v10
	v_add_co_ci_u32_e32 v11, vcc_lo, v1, v11, vcc_lo
	v_lshlrev_b64 v[16:17], 3, v[34:35]
	v_add_nc_u32_e32 v34, 0x1f4, v30
	s_waitcnt lgkmcnt(1)
	global_store_dwordx2 v[12:13], v[2:3], off
	global_store_dwordx2 v[14:15], v[4:5], off
	s_waitcnt lgkmcnt(0)
	global_store_dwordx2 v[10:11], v[6:7], off
	ds_read2_b64 v[2:5], v18 offset0:116 offset1:241
	v_lshlrev_b64 v[6:7], 3, v[34:35]
	v_add_nc_u32_e32 v34, 0x271, v30
	v_add_co_u32 v10, vcc_lo, v0, v16
	v_add_co_ci_u32_e32 v11, vcc_lo, v1, v17, vcc_lo
	v_lshlrev_b64 v[12:13], 3, v[34:35]
	v_add_nc_u32_e32 v34, 0x2ee, v30
	v_add_co_u32 v6, vcc_lo, v0, v6
	v_add_co_ci_u32_e32 v7, vcc_lo, v1, v7, vcc_lo
	v_add_co_u32 v12, vcc_lo, v0, v12
	v_lshlrev_b64 v[14:15], 3, v[34:35]
	v_add_nc_u32_e32 v34, 0x36b, v30
	v_add_co_ci_u32_e32 v13, vcc_lo, v1, v13, vcc_lo
	global_store_dwordx2 v[10:11], v[8:9], off
	s_waitcnt lgkmcnt(0)
	global_store_dwordx2 v[6:7], v[2:3], off
	global_store_dwordx2 v[12:13], v[4:5], off
	v_lshlrev_b64 v[10:11], 3, v[34:35]
	v_add_nc_u32_e32 v34, 0x3e8, v30
	v_add_nc_u32_e32 v16, 0x1400, v24
	;; [unrolled: 1-line block ×3, first 2 shown]
	v_add_co_u32 v14, vcc_lo, v0, v14
	v_lshlrev_b64 v[12:13], 3, v[34:35]
	v_add_nc_u32_e32 v34, 0x465, v30
	v_add_co_ci_u32_e32 v15, vcc_lo, v1, v15, vcc_lo
	ds_read2_b64 v[2:5], v16 offset0:110 offset1:235
	v_add_co_u32 v16, vcc_lo, v0, v10
	ds_read2_b64 v[6:9], v6 offset0:104 offset1:229
	v_add_co_ci_u32_e32 v17, vcc_lo, v1, v11, vcc_lo
	v_lshlrev_b64 v[10:11], 3, v[34:35]
	v_add_co_u32 v18, vcc_lo, v0, v12
	v_add_nc_u32_e32 v12, 0x2400, v24
	v_add_co_ci_u32_e32 v19, vcc_lo, v1, v13, vcc_lo
	v_add_co_u32 v20, vcc_lo, v0, v10
	v_add_nc_u32_e32 v34, 0x4e2, v30
	v_add_co_ci_u32_e32 v21, vcc_lo, v1, v11, vcc_lo
	ds_read2_b64 v[10:13], v12 offset0:98 offset1:223
	s_waitcnt lgkmcnt(2)
	global_store_dwordx2 v[14:15], v[2:3], off
	global_store_dwordx2 v[16:17], v[4:5], off
	s_waitcnt lgkmcnt(1)
	global_store_dwordx2 v[18:19], v[6:7], off
	global_store_dwordx2 v[20:21], v[8:9], off
	v_lshlrev_b64 v[22:23], 3, v[34:35]
	v_add_nc_u32_e32 v34, 0x55f, v30
	v_add_nc_u32_e32 v6, 0x2c00, v24
	;; [unrolled: 1-line block ×3, first 2 shown]
	v_lshlrev_b64 v[2:3], 3, v[34:35]
	v_add_nc_u32_e32 v34, 0x5dc, v30
	v_add_co_u32 v4, vcc_lo, v0, v22
	v_add_co_ci_u32_e32 v5, vcc_lo, v1, v23, vcc_lo
	v_lshlrev_b64 v[14:15], 3, v[34:35]
	v_add_nc_u32_e32 v34, 0x659, v30
	v_add_co_u32 v2, vcc_lo, v0, v2
	v_add_co_ci_u32_e32 v3, vcc_lo, v1, v3, vcc_lo
	s_waitcnt lgkmcnt(0)
	global_store_dwordx2 v[4:5], v[10:11], off
	v_lshlrev_b64 v[10:11], 3, v[34:35]
	v_add_nc_u32_e32 v34, 0x6d6, v30
	global_store_dwordx2 v[2:3], v[12:13], off
	v_add_co_u32 v12, vcc_lo, v0, v14
	ds_read2_b64 v[2:5], v6 offset0:92 offset1:217
	v_add_co_ci_u32_e32 v13, vcc_lo, v1, v15, vcc_lo
	v_lshlrev_b64 v[14:15], 3, v[34:35]
	v_add_nc_u32_e32 v34, 0x753, v30
	ds_read2_b64 v[6:9], v7 offset0:86 offset1:211
	v_add_co_u32 v10, vcc_lo, v0, v10
	v_add_co_ci_u32_e32 v11, vcc_lo, v1, v11, vcc_lo
	v_lshlrev_b64 v[16:17], 3, v[34:35]
	v_add_co_u32 v14, vcc_lo, v0, v14
	v_add_co_ci_u32_e32 v15, vcc_lo, v1, v15, vcc_lo
	v_add_co_u32 v16, vcc_lo, v0, v16
	v_add_co_ci_u32_e32 v17, vcc_lo, v1, v17, vcc_lo
	v_cmp_eq_u32_e32 vcc_lo, 0x7c, v30
	s_waitcnt lgkmcnt(1)
	global_store_dwordx2 v[12:13], v[2:3], off
	global_store_dwordx2 v[10:11], v[4:5], off
	s_waitcnt lgkmcnt(0)
	global_store_dwordx2 v[14:15], v[6:7], off
	global_store_dwordx2 v[16:17], v[8:9], off
	s_and_b32 exec_lo, exec_lo, vcc_lo
	s_cbranch_execz .LBB0_30
; %bb.29:
	v_mov_b32_e32 v2, 0
	v_add_co_u32 v0, vcc_lo, 0x3800, v0
	v_add_co_ci_u32_e32 v1, vcc_lo, 0, v1, vcc_lo
	ds_read_b64 v[2:3], v2 offset:16000
	s_waitcnt lgkmcnt(0)
	global_store_dwordx2 v[0:1], v[2:3], off offset:1664
.LBB0_30:
	s_endpgm
	.section	.rodata,"a",@progbits
	.p2align	6, 0x0
	.amdhsa_kernel fft_rtc_fwd_len2000_factors_5_5_5_16_wgs_125_tpt_125_halfLds_sp_op_CI_CI_unitstride_sbrr_R2C_dirReg
		.amdhsa_group_segment_fixed_size 0
		.amdhsa_private_segment_fixed_size 0
		.amdhsa_kernarg_size 104
		.amdhsa_user_sgpr_count 6
		.amdhsa_user_sgpr_private_segment_buffer 1
		.amdhsa_user_sgpr_dispatch_ptr 0
		.amdhsa_user_sgpr_queue_ptr 0
		.amdhsa_user_sgpr_kernarg_segment_ptr 1
		.amdhsa_user_sgpr_dispatch_id 0
		.amdhsa_user_sgpr_flat_scratch_init 0
		.amdhsa_user_sgpr_private_segment_size 0
		.amdhsa_wavefront_size32 1
		.amdhsa_uses_dynamic_stack 0
		.amdhsa_system_sgpr_private_segment_wavefront_offset 0
		.amdhsa_system_sgpr_workgroup_id_x 1
		.amdhsa_system_sgpr_workgroup_id_y 0
		.amdhsa_system_sgpr_workgroup_id_z 0
		.amdhsa_system_sgpr_workgroup_info 0
		.amdhsa_system_vgpr_workitem_id 0
		.amdhsa_next_free_vgpr 120
		.amdhsa_next_free_sgpr 27
		.amdhsa_reserve_vcc 1
		.amdhsa_reserve_flat_scratch 0
		.amdhsa_float_round_mode_32 0
		.amdhsa_float_round_mode_16_64 0
		.amdhsa_float_denorm_mode_32 3
		.amdhsa_float_denorm_mode_16_64 3
		.amdhsa_dx10_clamp 1
		.amdhsa_ieee_mode 1
		.amdhsa_fp16_overflow 0
		.amdhsa_workgroup_processor_mode 1
		.amdhsa_memory_ordered 1
		.amdhsa_forward_progress 0
		.amdhsa_shared_vgpr_count 0
		.amdhsa_exception_fp_ieee_invalid_op 0
		.amdhsa_exception_fp_denorm_src 0
		.amdhsa_exception_fp_ieee_div_zero 0
		.amdhsa_exception_fp_ieee_overflow 0
		.amdhsa_exception_fp_ieee_underflow 0
		.amdhsa_exception_fp_ieee_inexact 0
		.amdhsa_exception_int_div_zero 0
	.end_amdhsa_kernel
	.text
.Lfunc_end0:
	.size	fft_rtc_fwd_len2000_factors_5_5_5_16_wgs_125_tpt_125_halfLds_sp_op_CI_CI_unitstride_sbrr_R2C_dirReg, .Lfunc_end0-fft_rtc_fwd_len2000_factors_5_5_5_16_wgs_125_tpt_125_halfLds_sp_op_CI_CI_unitstride_sbrr_R2C_dirReg
                                        ; -- End function
	.section	.AMDGPU.csdata,"",@progbits
; Kernel info:
; codeLenInByte = 12272
; NumSgprs: 29
; NumVgprs: 120
; ScratchSize: 0
; MemoryBound: 0
; FloatMode: 240
; IeeeMode: 1
; LDSByteSize: 0 bytes/workgroup (compile time only)
; SGPRBlocks: 3
; VGPRBlocks: 14
; NumSGPRsForWavesPerEU: 29
; NumVGPRsForWavesPerEU: 120
; Occupancy: 8
; WaveLimiterHint : 1
; COMPUTE_PGM_RSRC2:SCRATCH_EN: 0
; COMPUTE_PGM_RSRC2:USER_SGPR: 6
; COMPUTE_PGM_RSRC2:TRAP_HANDLER: 0
; COMPUTE_PGM_RSRC2:TGID_X_EN: 1
; COMPUTE_PGM_RSRC2:TGID_Y_EN: 0
; COMPUTE_PGM_RSRC2:TGID_Z_EN: 0
; COMPUTE_PGM_RSRC2:TIDIG_COMP_CNT: 0
	.text
	.p2alignl 6, 3214868480
	.fill 48, 4, 3214868480
	.type	__hip_cuid_b79bbb4bcc6c9665,@object ; @__hip_cuid_b79bbb4bcc6c9665
	.section	.bss,"aw",@nobits
	.globl	__hip_cuid_b79bbb4bcc6c9665
__hip_cuid_b79bbb4bcc6c9665:
	.byte	0                               ; 0x0
	.size	__hip_cuid_b79bbb4bcc6c9665, 1

	.ident	"AMD clang version 19.0.0git (https://github.com/RadeonOpenCompute/llvm-project roc-6.4.0 25133 c7fe45cf4b819c5991fe208aaa96edf142730f1d)"
	.section	".note.GNU-stack","",@progbits
	.addrsig
	.addrsig_sym __hip_cuid_b79bbb4bcc6c9665
	.amdgpu_metadata
---
amdhsa.kernels:
  - .args:
      - .actual_access:  read_only
        .address_space:  global
        .offset:         0
        .size:           8
        .value_kind:     global_buffer
      - .offset:         8
        .size:           8
        .value_kind:     by_value
      - .actual_access:  read_only
        .address_space:  global
        .offset:         16
        .size:           8
        .value_kind:     global_buffer
      - .actual_access:  read_only
        .address_space:  global
        .offset:         24
        .size:           8
        .value_kind:     global_buffer
      - .actual_access:  read_only
        .address_space:  global
        .offset:         32
        .size:           8
        .value_kind:     global_buffer
      - .offset:         40
        .size:           8
        .value_kind:     by_value
      - .actual_access:  read_only
        .address_space:  global
        .offset:         48
        .size:           8
        .value_kind:     global_buffer
      - .actual_access:  read_only
        .address_space:  global
        .offset:         56
        .size:           8
        .value_kind:     global_buffer
      - .offset:         64
        .size:           4
        .value_kind:     by_value
      - .actual_access:  read_only
        .address_space:  global
        .offset:         72
        .size:           8
        .value_kind:     global_buffer
      - .actual_access:  read_only
        .address_space:  global
        .offset:         80
        .size:           8
        .value_kind:     global_buffer
      - .actual_access:  read_only
        .address_space:  global
        .offset:         88
        .size:           8
        .value_kind:     global_buffer
      - .actual_access:  write_only
        .address_space:  global
        .offset:         96
        .size:           8
        .value_kind:     global_buffer
    .group_segment_fixed_size: 0
    .kernarg_segment_align: 8
    .kernarg_segment_size: 104
    .language:       OpenCL C
    .language_version:
      - 2
      - 0
    .max_flat_workgroup_size: 125
    .name:           fft_rtc_fwd_len2000_factors_5_5_5_16_wgs_125_tpt_125_halfLds_sp_op_CI_CI_unitstride_sbrr_R2C_dirReg
    .private_segment_fixed_size: 0
    .sgpr_count:     29
    .sgpr_spill_count: 0
    .symbol:         fft_rtc_fwd_len2000_factors_5_5_5_16_wgs_125_tpt_125_halfLds_sp_op_CI_CI_unitstride_sbrr_R2C_dirReg.kd
    .uniform_work_group_size: 1
    .uses_dynamic_stack: false
    .vgpr_count:     120
    .vgpr_spill_count: 0
    .wavefront_size: 32
    .workgroup_processor_mode: 1
amdhsa.target:   amdgcn-amd-amdhsa--gfx1030
amdhsa.version:
  - 1
  - 2
...

	.end_amdgpu_metadata
